;; amdgpu-corpus repo=ROCm/rocFFT kind=compiled arch=gfx906 opt=O3
	.text
	.amdgcn_target "amdgcn-amd-amdhsa--gfx906"
	.amdhsa_code_object_version 6
	.protected	bluestein_single_back_len858_dim1_dp_op_CI_CI ; -- Begin function bluestein_single_back_len858_dim1_dp_op_CI_CI
	.globl	bluestein_single_back_len858_dim1_dp_op_CI_CI
	.p2align	8
	.type	bluestein_single_back_len858_dim1_dp_op_CI_CI,@function
bluestein_single_back_len858_dim1_dp_op_CI_CI: ; @bluestein_single_back_len858_dim1_dp_op_CI_CI
; %bb.0:
	s_mov_b64 s[54:55], s[2:3]
	v_mul_u32_u24_e32 v1, 0x349, v0
	s_mov_b64 s[52:53], s[0:1]
	s_load_dwordx4 s[0:3], s[4:5], 0x28
	v_lshrrev_b32_e32 v1, 16, v1
	s_add_u32 s52, s52, s7
	v_mad_u64_u32 v[148:149], s[6:7], s6, 3, v[1:2]
	v_mov_b32_e32 v149, 0
	s_addc_u32 s53, s53, 0
	s_waitcnt lgkmcnt(0)
	v_cmp_gt_u64_e32 vcc, s[0:1], v[148:149]
	s_and_saveexec_b64 s[0:1], vcc
	s_cbranch_execz .LBB0_23
; %bb.1:
	s_mov_b32 s0, 0xaaaaaaab
	v_mul_hi_u32 v2, v148, s0
	v_mul_lo_u16_e32 v1, 0x4e, v1
	s_load_dwordx2 s[14:15], s[4:5], 0x0
	s_load_dwordx2 s[12:13], s[4:5], 0x38
	v_sub_u16_e32 v219, v0, v1
	v_lshrrev_b32_e32 v0, 1, v2
	v_lshl_add_u32 v0, v0, 1, v0
	v_sub_u32_e32 v0, v148, v0
	v_mul_u32_u24_e32 v205, 0x35a, v0
	s_movk_i32 s0, 0x42
	v_cmp_gt_u16_e64 s[0:1], s0, v219
	v_lshlrev_b32_e32 v220, 4, v219
	v_lshlrev_b32_e32 v251, 4, v205
	s_and_saveexec_b64 s[6:7], s[0:1]
	s_cbranch_execz .LBB0_3
; %bb.2:
	s_load_dwordx2 s[8:9], s[4:5], 0x18
	s_waitcnt lgkmcnt(0)
	s_load_dwordx4 s[8:11], s[8:9], 0x0
	s_waitcnt lgkmcnt(0)
	v_mad_u64_u32 v[0:1], s[16:17], s10, v148, 0
	v_mad_u64_u32 v[2:3], s[16:17], s8, v219, 0
	;; [unrolled: 1-line block ×4, first 2 shown]
	v_mov_b32_e32 v1, v4
	v_lshlrev_b64 v[0:1], 4, v[0:1]
	v_mov_b32_e32 v3, v5
	v_mov_b32_e32 v6, s3
	v_lshlrev_b64 v[2:3], 4, v[2:3]
	v_add_co_u32_e32 v0, vcc, s2, v0
	v_addc_co_u32_e32 v1, vcc, v6, v1, vcc
	v_add_co_u32_e32 v12, vcc, v0, v2
	v_addc_co_u32_e32 v13, vcc, v1, v3, vcc
	v_mov_b32_e32 v0, s15
	v_add_co_u32_e32 v100, vcc, s14, v220
	s_mul_i32 s2, s9, 0x420
	s_mul_hi_u32 s3, s8, 0x420
	v_addc_co_u32_e32 v101, vcc, 0, v0, vcc
	s_add_i32 s2, s3, s2
	s_mul_i32 s3, s8, 0x420
	global_load_dwordx4 v[0:3], v220, s[14:15]
	v_mov_b32_e32 v4, s2
	v_add_co_u32_e32 v14, vcc, s3, v12
	v_addc_co_u32_e32 v15, vcc, v13, v4, vcc
	global_load_dwordx4 v[4:7], v[12:13], off
	global_load_dwordx4 v[8:11], v[14:15], off
	v_mov_b32_e32 v12, s2
	v_add_co_u32_e32 v32, vcc, s3, v14
	v_addc_co_u32_e32 v33, vcc, v15, v12, vcc
	v_mov_b32_e32 v20, s2
	v_add_co_u32_e32 v34, vcc, s3, v32
	v_addc_co_u32_e32 v35, vcc, v33, v20, vcc
	global_load_dwordx4 v[12:15], v220, s[14:15] offset:1056
	global_load_dwordx4 v[16:19], v220, s[14:15] offset:2112
	global_load_dwordx4 v[20:23], v[32:33], off
	global_load_dwordx4 v[24:27], v[34:35], off
	global_load_dwordx4 v[28:31], v220, s[14:15] offset:3168
	v_mov_b32_e32 v32, s2
	v_add_co_u32_e32 v36, vcc, s3, v34
	v_addc_co_u32_e32 v37, vcc, v35, v32, vcc
	s_movk_i32 s8, 0x1000
	v_add_co_u32_e32 v64, vcc, s8, v100
	v_addc_co_u32_e32 v65, vcc, 0, v101, vcc
	v_mov_b32_e32 v38, s2
	v_add_co_u32_e32 v48, vcc, s3, v36
	global_load_dwordx4 v[32:35], v[36:37], off
	v_addc_co_u32_e32 v49, vcc, v37, v38, vcc
	global_load_dwordx4 v[36:39], v[48:49], off
	global_load_dwordx4 v[40:43], v[64:65], off offset:128
	global_load_dwordx4 v[44:47], v[64:65], off offset:1184
	v_mov_b32_e32 v50, s2
	v_add_co_u32_e32 v52, vcc, s3, v48
	v_addc_co_u32_e32 v53, vcc, v49, v50, vcc
	v_mov_b32_e32 v54, s2
	v_add_co_u32_e32 v66, vcc, s3, v52
	v_addc_co_u32_e32 v67, vcc, v53, v54, vcc
	global_load_dwordx4 v[48:51], v[52:53], off
	s_nop 0
	global_load_dwordx4 v[52:55], v[66:67], off
	global_load_dwordx4 v[56:59], v[64:65], off offset:2240
	global_load_dwordx4 v[60:63], v[64:65], off offset:3296
	v_mov_b32_e32 v64, s2
	v_add_co_u32_e32 v68, vcc, s3, v66
	v_addc_co_u32_e32 v69, vcc, v67, v64, vcc
	s_movk_i32 s8, 0x2000
	v_add_co_u32_e32 v96, vcc, s8, v100
	v_addc_co_u32_e32 v97, vcc, 0, v101, vcc
	v_mov_b32_e32 v70, s2
	v_add_co_u32_e32 v80, vcc, s3, v68
	v_addc_co_u32_e32 v81, vcc, v69, v70, vcc
	v_mov_b32_e32 v82, s2
	v_add_co_u32_e32 v84, vcc, s3, v80
	v_addc_co_u32_e32 v85, vcc, v81, v82, vcc
	v_mov_b32_e32 v86, s2
	v_add_co_u32_e32 v98, vcc, s3, v84
	v_addc_co_u32_e32 v99, vcc, v85, v86, vcc
	global_load_dwordx4 v[64:67], v[68:69], off
	s_nop 0
	global_load_dwordx4 v[68:71], v[80:81], off
	global_load_dwordx4 v[72:75], v[96:97], off offset:256
	global_load_dwordx4 v[76:79], v[96:97], off offset:1312
	s_waitcnt vmcnt(18)
	v_mul_f64 v[104:105], v[6:7], v[2:3]
	global_load_dwordx4 v[80:83], v[84:85], off
	s_nop 0
	global_load_dwordx4 v[84:87], v[98:99], off
	global_load_dwordx4 v[88:91], v[96:97], off offset:2368
	global_load_dwordx4 v[92:95], v[96:97], off offset:3424
	v_mov_b32_e32 v97, s2
	v_add_co_u32_e32 v96, vcc, s3, v98
	v_addc_co_u32_e32 v97, vcc, v99, v97, vcc
	s_movk_i32 s2, 0x3000
	v_add_co_u32_e32 v100, vcc, s2, v100
	v_addc_co_u32_e32 v101, vcc, 0, v101, vcc
	global_load_dwordx4 v[96:99], v[96:97], off
	v_mul_f64 v[106:107], v[4:5], v[2:3]
	global_load_dwordx4 v[100:103], v[100:101], off offset:384
	v_fma_f64 v[2:3], v[4:5], v[0:1], v[104:105]
	s_waitcnt vmcnt(20)
	v_mul_f64 v[104:105], v[22:23], v[18:19]
	v_mul_f64 v[18:19], v[20:21], v[18:19]
	v_fma_f64 v[4:5], v[6:7], v[0:1], -v[106:107]
	v_mul_f64 v[0:1], v[10:11], v[14:15]
	v_mul_f64 v[14:15], v[8:9], v[14:15]
	s_waitcnt vmcnt(18)
	v_mul_f64 v[106:107], v[26:27], v[30:31]
	v_mul_f64 v[30:31], v[24:25], v[30:31]
	s_waitcnt vmcnt(15)
	v_mul_f64 v[108:109], v[34:35], v[42:43]
	v_mul_f64 v[42:43], v[32:33], v[42:43]
	v_fma_f64 v[6:7], v[8:9], v[12:13], v[0:1]
	v_fma_f64 v[8:9], v[10:11], v[12:13], -v[14:15]
	v_fma_f64 v[10:11], v[20:21], v[16:17], v[104:105]
	v_fma_f64 v[12:13], v[22:23], v[16:17], -v[18:19]
	;; [unrolled: 2-line block ×4, first 2 shown]
	v_lshl_add_u32 v0, v219, 4, v251
	ds_write_b128 v0, v[2:5]
	v_add_u32_e32 v32, v251, v220
	s_waitcnt vmcnt(14)
	v_mul_f64 v[0:1], v[38:39], v[46:47]
	v_mul_f64 v[2:3], v[36:37], v[46:47]
	ds_write_b128 v32, v[6:9] offset:1056
	ds_write_b128 v32, v[10:13] offset:2112
	;; [unrolled: 1-line block ×4, first 2 shown]
	s_waitcnt vmcnt(11)
	v_mul_f64 v[4:5], v[50:51], v[58:59]
	v_mul_f64 v[6:7], v[48:49], v[58:59]
	s_waitcnt vmcnt(10)
	v_mul_f64 v[8:9], v[54:55], v[62:63]
	v_mul_f64 v[10:11], v[52:53], v[62:63]
	v_fma_f64 v[0:1], v[36:37], v[44:45], v[0:1]
	v_fma_f64 v[2:3], v[38:39], v[44:45], -v[2:3]
	v_fma_f64 v[4:5], v[48:49], v[56:57], v[4:5]
	v_fma_f64 v[6:7], v[50:51], v[56:57], -v[6:7]
	;; [unrolled: 2-line block ×3, first 2 shown]
	s_waitcnt vmcnt(7)
	v_mul_f64 v[12:13], v[66:67], v[74:75]
	v_mul_f64 v[14:15], v[64:65], v[74:75]
	s_waitcnt vmcnt(6)
	v_mul_f64 v[16:17], v[70:71], v[78:79]
	v_mul_f64 v[18:19], v[68:69], v[78:79]
	v_fma_f64 v[12:13], v[64:65], v[72:73], v[12:13]
	v_fma_f64 v[14:15], v[66:67], v[72:73], -v[14:15]
	v_fma_f64 v[16:17], v[68:69], v[76:77], v[16:17]
	v_fma_f64 v[18:19], v[70:71], v[76:77], -v[18:19]
	s_waitcnt vmcnt(3)
	v_mul_f64 v[20:21], v[82:83], v[90:91]
	v_mul_f64 v[22:23], v[80:81], v[90:91]
	s_waitcnt vmcnt(2)
	v_mul_f64 v[24:25], v[86:87], v[94:95]
	v_mul_f64 v[26:27], v[84:85], v[94:95]
	v_fma_f64 v[20:21], v[80:81], v[88:89], v[20:21]
	v_fma_f64 v[22:23], v[82:83], v[88:89], -v[22:23]
	v_fma_f64 v[24:25], v[84:85], v[92:93], v[24:25]
	v_fma_f64 v[26:27], v[86:87], v[92:93], -v[26:27]
	s_waitcnt vmcnt(0)
	v_mul_f64 v[28:29], v[98:99], v[102:103]
	v_mul_f64 v[30:31], v[96:97], v[102:103]
	v_fma_f64 v[28:29], v[96:97], v[100:101], v[28:29]
	v_fma_f64 v[30:31], v[98:99], v[100:101], -v[30:31]
	ds_write_b128 v32, v[0:3] offset:5280
	ds_write_b128 v32, v[4:7] offset:6336
	;; [unrolled: 1-line block ×8, first 2 shown]
.LBB0_3:
	s_or_b64 exec, exec, s[6:7]
	s_load_dwordx2 s[2:3], s[4:5], 0x20
	s_load_dwordx2 s[8:9], s[4:5], 0x8
	s_waitcnt lgkmcnt(0)
	s_barrier
	s_waitcnt lgkmcnt(0)
                                        ; implicit-def: $vgpr4_vgpr5
                                        ; implicit-def: $vgpr8_vgpr9
                                        ; implicit-def: $vgpr12_vgpr13
                                        ; implicit-def: $vgpr16_vgpr17
                                        ; implicit-def: $vgpr20_vgpr21
                                        ; implicit-def: $vgpr24_vgpr25
                                        ; implicit-def: $vgpr28_vgpr29
                                        ; implicit-def: $vgpr32_vgpr33
                                        ; implicit-def: $vgpr36_vgpr37
                                        ; implicit-def: $vgpr40_vgpr41
                                        ; implicit-def: $vgpr44_vgpr45
                                        ; implicit-def: $vgpr48_vgpr49
                                        ; implicit-def: $vgpr52_vgpr53
	s_and_saveexec_b64 s[4:5], s[0:1]
	s_cbranch_execz .LBB0_5
; %bb.4:
	v_lshl_add_u32 v0, v205, 4, v220
	ds_read_b128 v[4:7], v0
	ds_read_b128 v[8:11], v0 offset:1056
	ds_read_b128 v[12:15], v0 offset:2112
	;; [unrolled: 1-line block ×12, first 2 shown]
.LBB0_5:
	s_or_b64 exec, exec, s[4:5]
	s_waitcnt lgkmcnt(0)
	v_add_f64 v[134:135], v[10:11], -v[54:55]
	v_add_f64 v[104:105], v[8:9], -v[52:53]
	s_mov_b32 s26, 0x4267c47c
	s_mov_b32 s27, 0xbfddbe06
	v_add_f64 v[70:71], v[8:9], v[52:53]
	v_add_f64 v[157:158], v[10:11], v[54:55]
	v_add_f64 v[161:162], v[14:15], -v[50:51]
	v_add_f64 v[124:125], v[12:13], -v[48:49]
	v_mul_f64 v[64:65], v[134:135], s[26:27]
	v_mul_f64 v[66:67], v[104:105], s[26:27]
	s_mov_b32 s4, 0xe00740e9
	s_mov_b32 s10, 0x42a4c3d2
	;; [unrolled: 1-line block ×4, first 2 shown]
	v_mul_f64 v[68:69], v[134:135], s[10:11]
	v_mul_f64 v[100:101], v[104:105], s[10:11]
	v_fma_f64 v[0:1], v[70:71], s[4:5], v[64:65]
	v_fma_f64 v[2:3], v[157:158], s[4:5], -v[66:67]
	v_add_f64 v[78:79], v[12:13], v[48:49]
	v_add_f64 v[177:178], v[14:15], v[50:51]
	v_mul_f64 v[72:73], v[161:162], s[10:11]
	v_mul_f64 v[74:75], v[124:125], s[10:11]
	v_add_f64 v[173:174], v[18:19], -v[46:47]
	v_add_f64 v[98:99], v[16:17], -v[44:45]
	s_mov_b32 s6, 0x1ea71119
	s_mov_b32 s34, 0x2ef20147
	;; [unrolled: 1-line block ×6, first 2 shown]
	v_fma_f64 v[56:57], v[70:71], s[6:7], v[68:69]
	v_fma_f64 v[58:59], v[157:158], s[6:7], -v[100:101]
	v_add_f64 v[0:1], v[4:5], v[0:1]
	v_add_f64 v[2:3], v[6:7], v[2:3]
	v_mul_f64 v[76:77], v[161:162], s[34:35]
	v_mul_f64 v[88:89], v[124:125], s[34:35]
	v_fma_f64 v[60:61], v[78:79], s[6:7], v[72:73]
	v_fma_f64 v[62:63], v[177:178], s[6:7], -v[74:75]
	v_add_f64 v[90:91], v[16:17], v[44:45]
	v_add_f64 v[179:180], v[18:19], v[46:47]
	v_mul_f64 v[80:81], v[173:174], s[30:31]
	v_mul_f64 v[82:83], v[98:99], s[30:31]
	v_add_f64 v[187:188], v[22:23], -v[42:43]
	v_add_f64 v[114:115], v[20:21], -v[40:41]
	s_mov_b32 s16, 0xb2365da1
	s_mov_b32 s20, 0xebaa3ed8
	s_mov_b32 s38, 0x4bc48dbf
	s_mov_b32 s17, 0xbfd6b1d8
	s_mov_b32 s21, 0x3fbedb7d
	s_mov_b32 s39, 0xbfcea1e5
	v_add_f64 v[56:57], v[4:5], v[56:57]
	v_add_f64 v[58:59], v[6:7], v[58:59]
	v_fma_f64 v[84:85], v[78:79], s[16:17], v[76:77]
	v_fma_f64 v[86:87], v[177:178], s[16:17], -v[88:89]
	v_add_f64 v[0:1], v[60:61], v[0:1]
	v_add_f64 v[2:3], v[62:63], v[2:3]
	v_fma_f64 v[60:61], v[90:91], s[20:21], v[80:81]
	v_fma_f64 v[62:63], v[179:180], s[20:21], -v[82:83]
	v_mul_f64 v[96:97], v[173:174], s[38:39]
	v_mul_f64 v[112:113], v[98:99], s[38:39]
	v_add_f64 v[106:107], v[20:21], v[40:41]
	v_add_f64 v[191:192], v[22:23], v[42:43]
	v_mul_f64 v[92:93], v[187:188], s[34:35]
	v_mul_f64 v[94:95], v[114:115], s[34:35]
	s_mov_b32 s22, 0x93053d00
	s_mov_b32 s40, 0x24c2f84
	;; [unrolled: 1-line block ×4, first 2 shown]
	v_add_f64 v[56:57], v[84:85], v[56:57]
	v_add_f64 v[58:59], v[86:87], v[58:59]
	v_fma_f64 v[84:85], v[90:91], s[22:23], v[96:97]
	v_fma_f64 v[86:87], v[179:180], s[22:23], -v[112:113]
	v_add_f64 v[0:1], v[60:61], v[0:1]
	v_add_f64 v[2:3], v[62:63], v[2:3]
	v_fma_f64 v[60:61], v[106:107], s[16:17], v[92:93]
	v_fma_f64 v[62:63], v[191:192], s[16:17], -v[94:95]
	v_mul_f64 v[102:103], v[187:188], s[40:41]
	v_mul_f64 v[122:123], v[114:115], s[40:41]
	v_add_f64 v[193:194], v[26:27], -v[38:39]
	v_add_f64 v[130:131], v[24:25], -v[36:37]
	s_mov_b32 s24, 0xd0032e0c
	s_mov_b32 s25, 0xbfe7f3cc
	;; [unrolled: 1-line block ×6, first 2 shown]
	v_add_f64 v[56:57], v[84:85], v[56:57]
	v_add_f64 v[58:59], v[86:87], v[58:59]
	;; [unrolled: 1-line block ×4, first 2 shown]
	v_fma_f64 v[60:61], v[106:107], s[24:25], v[102:103]
	v_fma_f64 v[62:63], v[191:192], s[24:25], -v[122:123]
	v_add_f64 v[126:127], v[24:25], v[36:37]
	v_add_f64 v[195:196], v[26:27], v[38:39]
	v_mul_f64 v[108:109], v[193:194], s[28:29]
	v_mul_f64 v[110:111], v[130:131], s[28:29]
	;; [unrolled: 1-line block ×4, first 2 shown]
	v_add_f64 v[197:198], v[30:31], -v[34:35]
	v_add_f64 v[138:139], v[28:29], -v[32:33]
	s_mov_b32 s37, 0x3fddbe06
	s_mov_b32 s36, s26
	v_add_f64 v[56:57], v[60:61], v[56:57]
	v_add_f64 v[58:59], v[62:63], v[58:59]
	v_fma_f64 v[60:61], v[126:127], s[24:25], v[108:109]
	v_fma_f64 v[62:63], v[195:196], s[24:25], -v[110:111]
	v_fma_f64 v[84:85], v[126:127], s[20:21], v[116:117]
	v_fma_f64 v[86:87], v[195:196], s[20:21], -v[132:133]
	v_add_f64 v[136:137], v[28:29], v[32:33]
	v_add_f64 v[201:202], v[30:31], v[34:35]
	v_mul_f64 v[118:119], v[197:198], s[38:39]
	v_mul_f64 v[120:121], v[138:139], s[38:39]
	;; [unrolled: 1-line block ×4, first 2 shown]
	v_add_f64 v[0:1], v[60:61], v[0:1]
	v_add_f64 v[2:3], v[62:63], v[2:3]
	;; [unrolled: 1-line block ×4, first 2 shown]
	v_fma_f64 v[60:61], v[136:137], s[22:23], v[118:119]
	v_fma_f64 v[62:63], v[201:202], s[22:23], -v[120:121]
	v_fma_f64 v[84:85], v[136:137], s[4:5], v[128:129]
	v_fma_f64 v[86:87], v[201:202], s[4:5], -v[140:141]
	v_mul_lo_u16_e32 v252, 13, v219
	s_barrier
	v_add_f64 v[0:1], v[60:61], v[0:1]
	v_add_f64 v[2:3], v[62:63], v[2:3]
	;; [unrolled: 1-line block ×4, first 2 shown]
	s_and_saveexec_b64 s[18:19], s[0:1]
	s_cbranch_execz .LBB0_7
; %bb.6:
	v_mul_f64 v[56:57], v[157:158], s[22:23]
	v_mul_f64 v[60:61], v[134:135], s[38:39]
	s_mov_b32 s47, 0x3fcea1e5
	s_mov_b32 s46, s38
	v_mul_f64 v[58:59], v[177:178], s[4:5]
	v_mul_f64 v[208:209], v[161:162], s[36:37]
	;; [unrolled: 1-line block ×4, first 2 shown]
	v_fma_f64 v[62:63], v[104:105], s[46:47], v[56:57]
	v_fma_f64 v[210:211], v[70:71], s[22:23], v[60:61]
	;; [unrolled: 1-line block ×3, first 2 shown]
	s_mov_b32 s49, 0x3fea55e2
	v_fma_f64 v[212:213], v[124:125], s[26:27], v[58:59]
	v_fma_f64 v[223:224], v[78:79], s[4:5], v[208:209]
	s_mov_b32 s48, s10
	v_mul_f64 v[216:217], v[191:192], s[6:7]
	v_add_f64 v[62:63], v[6:7], v[62:63]
	v_add_f64 v[210:211], v[4:5], v[210:211]
	v_fma_f64 v[225:226], v[98:99], s[40:41], v[203:204]
	v_fma_f64 v[227:228], v[90:91], s[24:25], v[221:222]
	;; [unrolled: 1-line block ×3, first 2 shown]
	v_add_f64 v[56:57], v[6:7], v[56:57]
	v_mul_f64 v[214:215], v[195:196], s[16:17]
	v_fma_f64 v[203:204], v[98:99], s[28:29], v[203:204]
	v_add_f64 v[62:63], v[212:213], v[62:63]
	v_mul_f64 v[212:213], v[187:188], s[48:49]
	v_add_f64 v[210:211], v[223:224], v[210:211]
	v_fma_f64 v[223:224], v[114:115], s[10:11], v[216:217]
	v_fma_f64 v[60:61], v[70:71], s[22:23], -v[60:61]
	v_add_f64 v[56:57], v[58:59], v[56:57]
	s_mov_b32 s43, 0x3fedeba7
	s_mov_b32 s42, s34
	v_add_f64 v[62:63], v[225:226], v[62:63]
	v_mul_f64 v[225:226], v[193:194], s[34:35]
	v_fma_f64 v[229:230], v[106:107], s[6:7], v[212:213]
	v_add_f64 v[210:211], v[227:228], v[210:211]
	v_fma_f64 v[227:228], v[130:131], s[42:43], v[214:215]
	v_fma_f64 v[216:217], v[114:115], s[48:49], v[216:217]
	v_add_f64 v[56:57], v[203:204], v[56:57]
	v_fma_f64 v[208:209], v[78:79], s[4:5], -v[208:209]
	v_add_f64 v[58:59], v[223:224], v[62:63]
	v_mul_f64 v[62:63], v[197:198], s[44:45]
	v_fma_f64 v[223:224], v[126:127], s[16:17], v[225:226]
	v_add_f64 v[210:211], v[229:230], v[210:211]
	v_add_f64 v[60:61], v[4:5], v[60:61]
	v_mul_f64 v[206:207], v[201:202], s[20:21]
	v_fma_f64 v[214:215], v[130:131], s[34:35], v[214:215]
	v_add_f64 v[216:217], v[216:217], v[56:57]
	v_add_f64 v[58:59], v[227:228], v[58:59]
	v_fma_f64 v[227:228], v[136:137], s[20:21], v[62:63]
	v_fma_f64 v[221:222], v[90:91], s[24:25], -v[221:222]
	v_add_f64 v[210:211], v[223:224], v[210:211]
	v_mul_f64 v[223:224], v[157:158], s[24:25]
	v_add_f64 v[60:61], v[208:209], v[60:61]
	v_mul_f64 v[208:209], v[134:135], s[28:29]
	v_fma_f64 v[229:230], v[138:139], s[30:31], v[206:207]
	v_fma_f64 v[212:213], v[106:107], s[6:7], -v[212:213]
	v_mul_f64 v[235:236], v[191:192], s[22:23]
	v_mul_f64 v[239:240], v[187:188], s[46:47]
	v_add_f64 v[56:57], v[227:228], v[210:211]
	v_add_f64 v[210:211], v[214:215], v[216:217]
	v_mul_f64 v[214:215], v[177:178], s[20:21]
	v_fma_f64 v[216:217], v[104:105], s[40:41], v[223:224]
	v_add_f64 v[60:61], v[221:222], v[60:61]
	v_fma_f64 v[221:222], v[136:137], s[20:21], -v[62:63]
	v_mul_f64 v[227:228], v[161:162], s[44:45]
	v_fma_f64 v[62:63], v[70:71], s[24:25], v[208:209]
	v_add_f64 v[58:59], v[229:230], v[58:59]
	v_mul_f64 v[229:230], v[179:180], s[6:7]
	v_fma_f64 v[231:232], v[124:125], s[30:31], v[214:215]
	v_add_f64 v[216:217], v[6:7], v[216:217]
	v_add_f64 v[60:61], v[212:213], v[60:61]
	v_mul_f64 v[212:213], v[173:174], s[10:11]
	v_fma_f64 v[233:234], v[78:79], s[20:21], v[227:228]
	v_add_f64 v[62:63], v[4:5], v[62:63]
	v_fma_f64 v[223:224], v[104:105], s[28:29], v[223:224]
	v_fma_f64 v[237:238], v[98:99], s[48:49], v[229:230]
	v_fma_f64 v[225:226], v[126:127], s[16:17], -v[225:226]
	v_add_f64 v[216:217], v[231:232], v[216:217]
	v_mul_f64 v[231:232], v[195:196], s[4:5]
	v_fma_f64 v[241:242], v[90:91], s[6:7], v[212:213]
	v_fma_f64 v[214:215], v[124:125], s[44:45], v[214:215]
	v_add_f64 v[62:63], v[233:234], v[62:63]
	v_add_f64 v[223:224], v[6:7], v[223:224]
	v_fma_f64 v[233:234], v[114:115], s[38:39], v[235:236]
	v_mul_f64 v[243:244], v[193:194], s[36:37]
	v_add_f64 v[216:217], v[237:238], v[216:217]
	v_fma_f64 v[245:246], v[106:107], s[22:23], v[239:240]
	v_fma_f64 v[206:207], v[138:139], s[44:45], v[206:207]
	v_mul_f64 v[237:238], v[201:202], s[16:17]
	v_add_f64 v[62:63], v[241:242], v[62:63]
	v_fma_f64 v[229:230], v[98:99], s[10:11], v[229:230]
	v_add_f64 v[214:215], v[214:215], v[223:224]
	v_fma_f64 v[223:224], v[130:131], s[26:27], v[231:232]
	v_add_f64 v[216:217], v[233:234], v[216:217]
	v_add_f64 v[60:61], v[225:226], v[60:61]
	v_mul_f64 v[225:226], v[197:198], s[34:35]
	v_fma_f64 v[233:234], v[126:127], s[4:5], v[243:244]
	v_add_f64 v[241:242], v[245:246], v[62:63]
	v_fma_f64 v[235:236], v[114:115], s[46:47], v[235:236]
	v_add_f64 v[214:215], v[229:230], v[214:215]
	;; [unrolled: 2-line block ×3, first 2 shown]
	v_add_f64 v[62:63], v[206:207], v[210:211]
	v_fma_f64 v[206:207], v[70:71], s[24:25], -v[208:209]
	v_fma_f64 v[210:211], v[136:137], s[16:17], v[225:226]
	v_add_f64 v[223:224], v[233:234], v[241:242]
	v_add_f64 v[60:61], v[221:222], v[60:61]
	v_mul_f64 v[221:222], v[157:158], s[16:17]
	v_fma_f64 v[231:232], v[130:131], s[36:37], v[231:232]
	v_add_f64 v[214:215], v[235:236], v[214:215]
	v_fma_f64 v[227:228], v[78:79], s[20:21], -v[227:228]
	v_add_f64 v[233:234], v[4:5], v[206:207]
	v_add_f64 v[208:209], v[229:230], v[216:217]
	;; [unrolled: 1-line block ×3, first 2 shown]
	v_mul_f64 v[216:217], v[134:135], s[34:35]
	v_mul_f64 v[223:224], v[177:178], s[24:25]
	v_fma_f64 v[229:230], v[104:105], s[42:43], v[221:222]
	v_fma_f64 v[210:211], v[138:139], s[34:35], v[237:238]
	v_fma_f64 v[212:213], v[90:91], s[6:7], -v[212:213]
	v_add_f64 v[227:228], v[227:228], v[233:234]
	v_add_f64 v[214:215], v[231:232], v[214:215]
	v_fma_f64 v[231:232], v[106:107], s[22:23], -v[239:240]
	v_mul_f64 v[233:234], v[161:162], s[40:41]
	v_fma_f64 v[235:236], v[70:71], s[16:17], v[216:217]
	v_fma_f64 v[237:238], v[124:125], s[28:29], v[223:224]
	v_add_f64 v[229:230], v[6:7], v[229:230]
	v_mul_f64 v[239:240], v[179:180], s[4:5]
	v_add_f64 v[212:213], v[212:213], v[227:228]
	v_fma_f64 v[221:222], v[104:105], s[34:35], v[221:222]
	v_mul_f64 v[241:242], v[173:174], s[36:37]
	v_fma_f64 v[245:246], v[78:79], s[24:25], v[233:234]
	v_add_f64 v[235:236], v[4:5], v[235:236]
	v_mul_f64 v[227:228], v[191:192], s[20:21]
	v_add_f64 v[229:230], v[237:238], v[229:230]
	v_fma_f64 v[237:238], v[98:99], s[26:27], v[239:240]
	v_fma_f64 v[223:224], v[124:125], s[40:41], v[223:224]
	v_add_f64 v[221:222], v[6:7], v[221:222]
	v_add_f64 v[212:213], v[231:232], v[212:213]
	v_fma_f64 v[243:244], v[126:127], s[4:5], -v[243:244]
	v_add_f64 v[235:236], v[245:246], v[235:236]
	v_fma_f64 v[245:246], v[90:91], s[4:5], v[241:242]
	v_fma_f64 v[231:232], v[114:115], s[44:45], v[227:228]
	v_add_f64 v[229:230], v[237:238], v[229:230]
	v_mul_f64 v[237:238], v[187:188], s[30:31]
	v_add_f64 v[221:222], v[223:224], v[221:222]
	v_mul_f64 v[223:224], v[195:196], s[22:23]
	v_fma_f64 v[225:226], v[136:137], s[16:17], -v[225:226]
	v_add_f64 v[243:244], v[243:244], v[212:213]
	v_mul_f64 v[247:248], v[193:194], s[46:47]
	v_fma_f64 v[239:240], v[98:99], s[36:37], v[239:240]
	v_add_f64 v[235:236], v[245:246], v[235:236]
	v_fma_f64 v[245:246], v[106:107], s[20:21], v[237:238]
	v_mul_f64 v[167:168], v[157:158], s[4:5]
	v_mul_f64 v[199:200], v[157:158], s[6:7]
	v_add_f64 v[229:230], v[231:232], v[229:230]
	v_fma_f64 v[231:232], v[130:131], s[38:39], v[223:224]
	v_add_f64 v[212:213], v[210:211], v[214:215]
	v_add_f64 v[210:211], v[225:226], v[243:244]
	v_mul_f64 v[243:244], v[201:202], s[6:7]
	v_add_f64 v[214:215], v[239:240], v[221:222]
	v_fma_f64 v[221:222], v[126:127], s[22:23], v[247:248]
	v_add_f64 v[235:236], v[245:246], v[235:236]
	v_mul_f64 v[239:240], v[197:198], s[48:49]
	v_mul_f64 v[157:158], v[157:158], s[20:21]
	v_fma_f64 v[216:217], v[70:71], s[16:17], -v[216:217]
	v_mul_f64 v[163:164], v[177:178], s[6:7]
	v_mul_f64 v[181:182], v[177:178], s[16:17]
	v_fma_f64 v[227:228], v[114:115], s[30:31], v[227:228]
	v_add_f64 v[229:230], v[231:232], v[229:230]
	v_fma_f64 v[231:232], v[138:139], s[10:11], v[243:244]
	v_add_f64 v[221:222], v[221:222], v[235:236]
	v_fma_f64 v[235:236], v[136:137], s[6:7], v[239:240]
	v_mul_f64 v[177:178], v[177:178], s[22:23]
	v_mul_f64 v[245:246], v[134:135], s[30:31]
	v_fma_f64 v[134:135], v[104:105], s[44:45], v[157:158]
	v_fma_f64 v[233:234], v[78:79], s[24:25], -v[233:234]
	v_add_f64 v[249:250], v[4:5], v[216:217]
	v_fma_f64 v[104:105], v[104:105], s[30:31], v[157:158]
	v_add_f64 v[10:11], v[6:7], v[10:11]
	v_add_f64 v[8:9], v[4:5], v[8:9]
	v_mul_f64 v[149:150], v[179:180], s[20:21]
	v_mul_f64 v[175:176], v[179:180], s[22:23]
	v_add_f64 v[227:228], v[227:228], v[214:215]
	v_add_f64 v[216:217], v[231:232], v[229:230]
	;; [unrolled: 1-line block ×3, first 2 shown]
	v_fma_f64 v[221:222], v[124:125], s[46:47], v[177:178]
	v_fma_f64 v[231:232], v[90:91], s[4:5], -v[241:242]
	v_add_f64 v[233:234], v[233:234], v[249:250]
	v_mul_f64 v[179:180], v[179:180], s[16:17]
	v_fma_f64 v[124:125], v[124:125], s[38:39], v[177:178]
	v_add_f64 v[104:105], v[6:7], v[104:105]
	v_add_f64 v[100:101], v[100:101], v[199:200]
	;; [unrolled: 1-line block ×4, first 2 shown]
	v_mul_f64 v[153:154], v[70:71], s[4:5]
	v_mul_f64 v[159:160], v[70:71], s[6:7]
	v_mul_f64 v[144:145], v[191:192], s[16:17]
	v_mul_f64 v[189:190], v[191:192], s[24:25]
	v_fma_f64 v[223:224], v[130:131], s[46:47], v[223:224]
	v_mul_f64 v[161:162], v[161:162], s[38:39]
	v_fma_f64 v[229:230], v[70:71], s[20:21], v[245:246]
	v_add_f64 v[231:232], v[231:232], v[233:234]
	v_fma_f64 v[233:234], v[98:99], s[34:35], v[179:180]
	v_mul_f64 v[191:192], v[191:192], s[4:5]
	v_fma_f64 v[98:99], v[98:99], s[42:43], v[179:180]
	v_fma_f64 v[70:71], v[70:71], s[20:21], -v[245:246]
	v_add_f64 v[104:105], v[124:125], v[104:105]
	v_add_f64 v[88:89], v[88:89], v[181:182]
	;; [unrolled: 1-line block ×5, first 2 shown]
	v_mul_f64 v[151:152], v[78:79], s[6:7]
	v_mul_f64 v[165:166], v[78:79], s[16:17]
	;; [unrolled: 1-line block ×4, first 2 shown]
	v_add_f64 v[223:224], v[223:224], v[227:228]
	v_fma_f64 v[227:228], v[78:79], s[22:23], v[161:162]
	v_mul_f64 v[173:174], v[173:174], s[42:43]
	v_mul_f64 v[195:196], v[195:196], s[6:7]
	v_fma_f64 v[12:13], v[114:115], s[36:37], v[191:192]
	v_fma_f64 v[14:15], v[78:79], s[22:23], -v[161:162]
	v_add_f64 v[70:71], v[4:5], v[70:71]
	v_add_f64 v[78:79], v[98:99], v[104:105]
	;; [unrolled: 1-line block ×6, first 2 shown]
	v_fma_f64 v[16:17], v[130:131], s[10:11], v[195:196]
	v_fma_f64 v[18:19], v[90:91], s[16:17], -v[173:174]
	v_add_f64 v[14:15], v[14:15], v[70:71]
	v_add_f64 v[12:13], v[12:13], v[78:79]
	;; [unrolled: 1-line block ×7, first 2 shown]
	v_mul_f64 v[146:147], v[90:91], s[20:21]
	v_add_f64 v[14:15], v[18:19], v[14:15]
	v_add_f64 v[12:13], v[16:17], v[12:13]
	;; [unrolled: 1-line block ×6, first 2 shown]
	v_add_f64 v[28:29], v[159:160], -v[68:69]
	v_add_f64 v[134:135], v[6:7], v[134:135]
	v_add_f64 v[6:7], v[6:7], v[66:67]
	v_add_f64 v[66:67], v[151:152], -v[72:73]
	v_mul_f64 v[155:156], v[90:91], s[22:23]
	v_add_f64 v[16:17], v[16:17], v[18:19]
	v_add_f64 v[18:19], v[153:154], -v[64:65]
	v_add_f64 v[10:11], v[10:11], v[34:35]
	v_add_f64 v[8:9], v[8:9], v[32:33]
	;; [unrolled: 1-line block ×4, first 2 shown]
	v_add_f64 v[30:31], v[165:166], -v[76:77]
	v_mul_f64 v[142:143], v[106:107], s[16:17]
	v_add_f64 v[32:33], v[82:83], v[149:150]
	v_add_f64 v[18:19], v[4:5], v[18:19]
	;; [unrolled: 1-line block ×6, first 2 shown]
	v_add_f64 v[34:35], v[146:147], -v[80:81]
	v_mul_f64 v[171:172], v[106:107], s[24:25]
	v_add_f64 v[28:29], v[155:156], -v[96:97]
	v_add_f64 v[18:19], v[66:67], v[18:19]
	v_add_f64 v[4:5], v[30:31], v[4:5]
	v_mul_f64 v[187:188], v[187:188], s[36:37]
	v_add_f64 v[134:135], v[221:222], v[134:135]
	v_fma_f64 v[237:238], v[106:107], s[20:21], -v[237:238]
	v_fma_f64 v[241:242], v[138:139], s[48:49], v[243:244]
	v_add_f64 v[227:228], v[227:228], v[229:230]
	v_fma_f64 v[243:244], v[90:91], s[16:17], v[173:174]
	v_add_f64 v[10:11], v[10:11], v[42:43]
	v_add_f64 v[8:9], v[8:9], v[40:41]
	v_mul_f64 v[169:170], v[126:127], s[24:25]
	v_add_f64 v[36:37], v[94:95], v[144:145]
	v_add_f64 v[6:7], v[32:33], v[6:7]
	v_add_f64 v[32:33], v[142:143], -v[92:93]
	v_add_f64 v[18:19], v[34:35], v[18:19]
	v_mul_f64 v[185:186], v[126:127], s[20:21]
	v_add_f64 v[30:31], v[171:172], -v[102:103]
	v_add_f64 v[4:5], v[28:29], v[4:5]
	v_mul_f64 v[193:194], v[193:194], s[10:11]
	v_fma_f64 v[22:23], v[106:107], s[4:5], -v[187:188]
	v_mul_f64 v[229:230], v[201:202], s[4:5]
	v_add_f64 v[233:234], v[233:234], v[134:135]
	v_add_f64 v[231:232], v[237:238], v[231:232]
	v_fma_f64 v[237:238], v[114:115], s[26:27], v[191:192]
	v_add_f64 v[134:135], v[241:242], v[223:224]
	v_fma_f64 v[223:224], v[126:127], s[22:23], -v[247:248]
	v_add_f64 v[227:228], v[243:244], v[227:228]
	v_fma_f64 v[241:242], v[106:107], s[4:5], v[187:188]
	v_add_f64 v[10:11], v[10:11], v[46:47]
	v_add_f64 v[8:9], v[8:9], v[44:45]
	v_mul_f64 v[225:226], v[136:137], s[22:23]
	v_mul_f64 v[235:236], v[201:202], s[22:23]
	v_mul_f64 v[201:202], v[201:202], s[24:25]
	v_add_f64 v[34:35], v[110:111], v[183:184]
	v_add_f64 v[6:7], v[36:37], v[6:7]
	v_add_f64 v[36:37], v[169:170], -v[108:109]
	v_add_f64 v[18:19], v[32:33], v[18:19]
	v_mul_f64 v[221:222], v[136:137], s[4:5]
	v_add_f64 v[28:29], v[185:186], -v[116:117]
	v_add_f64 v[4:5], v[30:31], v[4:5]
	v_mul_f64 v[157:158], v[197:198], s[28:29]
	v_fma_f64 v[26:27], v[126:127], s[6:7], -v[193:194]
	v_add_f64 v[14:15], v[22:23], v[14:15]
	v_add_f64 v[233:234], v[237:238], v[233:234]
	v_fma_f64 v[237:238], v[130:131], s[48:49], v[195:196]
	v_add_f64 v[197:198], v[223:224], v[231:232]
	v_fma_f64 v[231:232], v[126:127], s[6:7], v[193:194]
	v_add_f64 v[227:228], v[241:242], v[227:228]
	v_add_f64 v[22:23], v[140:141], v[229:230]
	;; [unrolled: 1-line block ×4, first 2 shown]
	v_fma_f64 v[20:21], v[138:139], s[28:29], v[201:202]
	v_add_f64 v[32:33], v[120:121], v[235:236]
	v_add_f64 v[34:35], v[34:35], v[6:7]
	v_add_f64 v[38:39], v[225:226], -v[118:119]
	v_add_f64 v[36:37], v[36:37], v[18:19]
	v_add_f64 v[30:31], v[221:222], -v[128:129]
	v_add_f64 v[4:5], v[28:29], v[4:5]
	v_fma_f64 v[24:25], v[136:137], s[24:25], -v[157:158]
	v_add_f64 v[26:27], v[26:27], v[14:15]
	v_fma_f64 v[239:240], v[136:137], s[6:7], -v[239:240]
	v_fma_f64 v[223:224], v[138:139], s[40:41], v[201:202]
	v_add_f64 v[233:234], v[237:238], v[233:234]
	v_fma_f64 v[177:178], v[136:137], s[24:25], v[157:158]
	v_add_f64 v[199:200], v[231:232], v[227:228]
	v_add_f64 v[10:11], v[22:23], v[16:17]
	;; [unrolled: 1-line block ×10, first 2 shown]
	v_add_lshl_u32 v24, v205, v252, 4
	v_add_f64 v[22:23], v[223:224], v[233:234]
	v_add_f64 v[20:21], v[177:178], v[199:200]
	ds_write_b128 v24, v[16:19]
	ds_write_b128 v24, v[12:15] offset:16
	ds_write_b128 v24, v[8:11] offset:32
	;; [unrolled: 1-line block ×12, first 2 shown]
.LBB0_7:
	s_or_b64 exec, exec, s[18:19]
	s_load_dwordx4 s[4:7], s[2:3], 0x0
	s_movk_i32 s2, 0x4f
	v_mul_lo_u16_sdwa v4, v219, s2 dst_sel:DWORD dst_unused:UNUSED_PAD src0_sel:BYTE_0 src1_sel:DWORD
	v_lshrrev_b16_e32 v28, 10, v4
	v_mul_lo_u16_e32 v4, 13, v28
	v_sub_u16_e32 v29, v219, v4
	v_mov_b32_e32 v4, 10
	v_mul_u32_u24_sdwa v4, v29, v4 dst_sel:DWORD dst_unused:UNUSED_PAD src0_sel:BYTE_0 src1_sel:DWORD
	v_lshlrev_b32_e32 v30, 4, v4
	s_waitcnt lgkmcnt(0)
	s_barrier
	global_load_dwordx4 v[52:55], v30, s[8:9]
	global_load_dwordx4 v[44:47], v30, s[8:9] offset:16
	global_load_dwordx4 v[16:19], v30, s[8:9] offset:32
	;; [unrolled: 1-line block ×9, first 2 shown]
	v_add_lshl_u32 v245, v205, v219, 4
	ds_read_b128 v[30:33], v245
	ds_read_b128 v[34:37], v245 offset:1248
	ds_read_b128 v[56:59], v245 offset:2496
	;; [unrolled: 1-line block ×10, first 2 shown]
	s_mov_b32 s28, 0xf8bb580b
	s_mov_b32 s16, 0x43842ef
	s_mov_b32 s24, 0xbb3a28a1
	s_mov_b32 s30, 0xfd768dbf
	s_mov_b32 s29, 0xbfe14ced
	s_mov_b32 s19, 0xbfed1bb4
	s_mov_b32 s18, 0x8eee2c13
	s_mov_b32 s17, 0xbfefac9e
	s_mov_b32 s25, 0xbfe82f19
	s_mov_b32 s31, 0xbfd207e7
	s_mov_b32 s20, 0x8764f0ba
	s_mov_b32 s2, 0xd9c712b6
	s_mov_b32 s10, 0x640f44db
	s_mov_b32 s22, 0x7f775887
	s_mov_b32 s26, 0x9bcd5057
	s_mov_b32 s21, 0x3feaeb8c
	s_mov_b32 s3, 0x3fda9628
	s_mov_b32 s11, 0xbfc2375f
	s_mov_b32 s23, 0xbfe4f49e
	s_mov_b32 s27, 0xbfeeb42a
	s_mov_b32 s39, 0x3fd207e7
	s_mov_b32 s38, s30
	s_mov_b32 s37, 0x3fefac9e
	s_mov_b32 s36, s16
	s_mov_b32 s35, 0x3fe14ced
	s_mov_b32 s34, s28
	v_mul_u32_u24_e32 v28, 0x8f, v28
	v_add_u32_sdwa v28, v28, v29 dst_sel:DWORD dst_unused:UNUSED_PAD src0_sel:DWORD src1_sel:BYTE_0
	v_add_lshl_u32 v247, v205, v28, 4
	s_waitcnt vmcnt(0) lgkmcnt(0)
	s_barrier
	v_mul_f64 v[38:39], v[36:37], v[54:55]
	v_mul_f64 v[96:97], v[34:35], v[54:55]
	;; [unrolled: 1-line block ×17, first 2 shown]
	v_fma_f64 v[34:35], v[34:35], v[52:53], -v[38:39]
	v_mul_f64 v[128:129], v[88:89], v[26:27]
	v_fma_f64 v[36:37], v[36:37], v[52:53], v[96:97]
	v_fma_f64 v[38:39], v[56:57], v[44:45], -v[98:99]
	v_fma_f64 v[56:57], v[58:59], v[44:45], v[100:101]
	v_fma_f64 v[58:59], v[60:61], v[16:17], -v[102:103]
	;; [unrolled: 2-line block ×8, first 2 shown]
	v_add_f64 v[94:95], v[30:31], v[34:35]
	v_fma_f64 v[90:91], v[90:91], v[24:25], v[128:129]
	v_add_f64 v[96:97], v[32:33], v[36:37]
	v_mul_f64 v[122:123], v[82:83], v[6:7]
	v_mul_f64 v[124:125], v[80:81], v[6:7]
	v_add_f64 v[98:99], v[34:35], v[78:79]
	v_add_f64 v[34:35], v[34:35], -v[78:79]
	v_add_f64 v[102:103], v[38:39], v[88:89]
	v_add_f64 v[106:107], v[38:39], -v[88:89]
	v_add_f64 v[38:39], v[94:95], v[38:39]
	v_add_f64 v[104:105], v[56:57], v[90:91]
	v_add_f64 v[108:109], v[56:57], -v[90:91]
	v_add_f64 v[56:57], v[96:97], v[56:57]
	v_add_f64 v[100:101], v[36:37], v[92:93]
	v_add_f64 v[36:37], v[36:37], -v[92:93]
	v_mul_f64 v[96:97], v[34:35], s[28:29]
	v_mul_f64 v[112:113], v[34:35], s[18:19]
	v_add_f64 v[38:39], v[38:39], v[58:59]
	v_mul_f64 v[116:117], v[34:35], s[16:17]
	v_mul_f64 v[120:121], v[34:35], s[24:25]
	v_add_f64 v[56:57], v[56:57], v[60:61]
	v_mul_f64 v[34:35], v[34:35], s[30:31]
	v_fma_f64 v[80:81], v[80:81], v[4:5], -v[122:123]
	v_mul_f64 v[94:95], v[36:37], s[28:29]
	v_mul_f64 v[110:111], v[36:37], s[18:19]
	v_add_f64 v[38:39], v[38:39], v[62:63]
	v_mul_f64 v[114:115], v[36:37], s[16:17]
	v_mul_f64 v[118:119], v[36:37], s[24:25]
	v_add_f64 v[56:57], v[56:57], v[64:65]
	v_mul_f64 v[36:37], v[36:37], s[30:31]
	v_fma_f64 v[130:131], v[100:101], s[20:21], v[96:97]
	v_fma_f64 v[96:97], v[100:101], s[20:21], -v[96:97]
	v_fma_f64 v[134:135], v[100:101], s[2:3], v[112:113]
	v_add_f64 v[38:39], v[38:39], v[66:67]
	v_fma_f64 v[112:113], v[100:101], s[2:3], -v[112:113]
	v_fma_f64 v[138:139], v[100:101], s[10:11], v[116:117]
	v_add_f64 v[56:57], v[56:57], v[68:69]
	v_fma_f64 v[116:117], v[100:101], s[10:11], -v[116:117]
	v_fma_f64 v[142:143], v[100:101], s[22:23], v[120:121]
	v_fma_f64 v[120:121], v[100:101], s[22:23], -v[120:121]
	v_fma_f64 v[146:147], v[100:101], s[26:27], v[34:35]
	v_add_f64 v[38:39], v[38:39], v[70:71]
	v_fma_f64 v[100:101], v[100:101], s[26:27], -v[34:35]
	v_fma_f64 v[82:83], v[82:83], v[4:5], v[124:125]
	v_add_f64 v[56:57], v[56:57], v[72:73]
	v_fma_f64 v[128:129], v[98:99], s[20:21], -v[94:95]
	v_fma_f64 v[94:95], v[98:99], s[20:21], v[94:95]
	v_fma_f64 v[132:133], v[98:99], s[2:3], -v[110:111]
	v_fma_f64 v[110:111], v[98:99], s[2:3], v[110:111]
	v_add_f64 v[34:35], v[38:39], v[74:75]
	v_fma_f64 v[136:137], v[98:99], s[10:11], -v[114:115]
	v_fma_f64 v[114:115], v[98:99], s[10:11], v[114:115]
	v_fma_f64 v[140:141], v[98:99], s[22:23], -v[118:119]
	v_fma_f64 v[118:119], v[98:99], s[22:23], v[118:119]
	;; [unrolled: 2-line block ×3, first 2 shown]
	v_add_f64 v[36:37], v[56:57], v[76:77]
	v_add_f64 v[34:35], v[34:35], v[80:81]
	v_mul_f64 v[124:125], v[106:107], s[18:19]
	v_mul_f64 v[122:123], v[108:109], s[18:19]
	;; [unrolled: 1-line block ×3, first 2 shown]
	v_add_f64 v[96:97], v[32:33], v[96:97]
	v_add_f64 v[38:39], v[30:31], v[128:129]
	;; [unrolled: 1-line block ×5, first 2 shown]
	v_fma_f64 v[151:152], v[104:105], s[2:3], v[124:125]
	v_fma_f64 v[149:150], v[102:103], s[2:3], -v[122:123]
	v_fma_f64 v[122:123], v[102:103], s[2:3], v[122:123]
	v_add_f64 v[94:95], v[30:31], v[94:95]
	v_add_f64 v[128:129], v[30:31], v[132:133]
	;; [unrolled: 1-line block ×5, first 2 shown]
	v_fma_f64 v[78:79], v[104:105], s[2:3], -v[124:125]
	v_mul_f64 v[124:125], v[106:107], s[24:25]
	v_add_f64 v[110:111], v[30:31], v[110:111]
	v_add_f64 v[112:113], v[32:33], v[112:113]
	;; [unrolled: 1-line block ×13, first 2 shown]
	v_fma_f64 v[92:93], v[102:103], s[22:23], -v[126:127]
	v_add_f64 v[30:31], v[30:31], v[98:99]
	v_add_f64 v[32:33], v[32:33], v[100:101]
	;; [unrolled: 1-line block ×3, first 2 shown]
	v_fma_f64 v[96:97], v[104:105], s[22:23], v[124:125]
	v_mul_f64 v[98:99], v[108:109], s[38:39]
	v_mul_f64 v[100:101], v[106:107], s[38:39]
	v_add_f64 v[94:95], v[122:123], v[94:95]
	v_add_f64 v[92:93], v[92:93], v[128:129]
	v_mul_f64 v[122:123], v[108:109], s[36:37]
	v_mul_f64 v[142:143], v[106:107], s[36:37]
	v_fma_f64 v[126:127], v[102:103], s[22:23], v[126:127]
	v_add_f64 v[96:97], v[96:97], v[130:131]
	v_fma_f64 v[128:129], v[102:103], s[26:27], -v[98:99]
	v_fma_f64 v[130:131], v[104:105], s[26:27], v[100:101]
	v_fma_f64 v[98:99], v[102:103], s[26:27], v[98:99]
	v_fma_f64 v[100:101], v[104:105], s[26:27], -v[100:101]
	v_fma_f64 v[124:125], v[104:105], s[22:23], -v[124:125]
	v_mul_f64 v[108:109], v[108:109], s[34:35]
	v_mul_f64 v[106:107], v[106:107], s[34:35]
	v_fma_f64 v[140:141], v[102:103], s[10:11], -v[122:123]
	v_add_f64 v[110:111], v[126:127], v[110:111]
	v_add_f64 v[126:127], v[130:131], v[134:135]
	v_add_f64 v[98:99], v[98:99], v[114:115]
	v_add_f64 v[100:101], v[100:101], v[116:117]
	v_fma_f64 v[114:115], v[104:105], s[10:11], v[142:143]
	v_fma_f64 v[116:117], v[102:103], s[10:11], v[122:123]
	v_add_f64 v[112:113], v[124:125], v[112:113]
	v_add_f64 v[124:125], v[128:129], v[132:133]
	v_add_f64 v[122:123], v[60:61], -v[82:83]
	v_fma_f64 v[128:129], v[104:105], s[10:11], -v[142:143]
	v_fma_f64 v[130:131], v[104:105], s[20:21], v[106:107]
	v_add_f64 v[60:61], v[60:61], v[82:83]
	v_add_f64 v[90:91], v[114:115], v[90:91]
	v_add_f64 v[114:115], v[58:59], -v[80:81]
	v_add_f64 v[116:117], v[116:117], v[118:119]
	v_fma_f64 v[118:119], v[102:103], s[20:21], -v[108:109]
	v_add_f64 v[58:59], v[58:59], v[80:81]
	v_add_f64 v[120:121], v[128:129], v[120:121]
	v_fma_f64 v[102:103], v[102:103], s[20:21], v[108:109]
	v_fma_f64 v[104:105], v[104:105], s[20:21], -v[106:107]
	v_mul_f64 v[128:129], v[122:123], s[38:39]
	v_mul_f64 v[82:83], v[114:115], s[16:17]
	;; [unrolled: 1-line block ×3, first 2 shown]
	v_add_f64 v[108:109], v[118:119], v[136:137]
	v_add_f64 v[118:119], v[130:131], v[138:139]
	v_mul_f64 v[130:131], v[114:115], s[38:39]
	v_add_f64 v[30:31], v[102:103], v[30:31]
	v_add_f64 v[32:33], v[104:105], v[32:33]
	v_fma_f64 v[102:103], v[58:59], s[26:27], -v[128:129]
	v_fma_f64 v[132:133], v[60:61], s[10:11], v[82:83]
	v_fma_f64 v[82:83], v[60:61], s[10:11], -v[82:83]
	v_fma_f64 v[106:107], v[58:59], s[10:11], -v[80:81]
	v_fma_f64 v[80:81], v[58:59], s[10:11], v[80:81]
	v_fma_f64 v[104:105], v[60:61], s[26:27], v[130:131]
	v_add_f64 v[38:39], v[149:150], v[38:39]
	s_mov_b32 s19, 0x3fed1bb4
	v_add_f64 v[88:89], v[140:141], v[88:89]
	v_add_f64 v[56:57], v[151:152], v[56:57]
	;; [unrolled: 1-line block ×6, first 2 shown]
	v_fma_f64 v[96:97], v[60:61], s[26:27], -v[130:131]
	v_mul_f64 v[130:131], v[114:115], s[28:29]
	v_fma_f64 v[94:95], v[58:59], s[26:27], v[128:129]
	v_mul_f64 v[128:129], v[122:123], s[28:29]
	v_add_f64 v[38:39], v[106:107], v[38:39]
	v_mul_f64 v[106:107], v[122:123], s[18:19]
	v_add_f64 v[56:57], v[132:133], v[56:57]
	v_mul_f64 v[132:133], v[114:115], s[18:19]
	v_add_f64 v[96:97], v[96:97], v[112:113]
	v_fma_f64 v[112:113], v[60:61], s[20:21], v[130:131]
	v_add_f64 v[94:95], v[94:95], v[110:111]
	v_fma_f64 v[110:111], v[58:59], s[20:21], -v[128:129]
	v_mul_f64 v[114:115], v[114:115], s[24:25]
	v_fma_f64 v[102:103], v[58:59], s[2:3], -v[106:107]
	v_fma_f64 v[106:107], v[58:59], s[2:3], v[106:107]
	v_fma_f64 v[104:105], v[60:61], s[2:3], v[132:133]
	v_fma_f64 v[132:133], v[60:61], s[2:3], -v[132:133]
	v_add_f64 v[90:91], v[112:113], v[90:91]
	v_add_f64 v[112:113], v[62:63], -v[74:75]
	v_add_f64 v[88:89], v[110:111], v[88:89]
	v_add_f64 v[110:111], v[64:65], -v[76:77]
	v_add_f64 v[102:103], v[102:103], v[124:125]
	v_fma_f64 v[124:125], v[60:61], s[20:21], -v[130:131]
	v_add_f64 v[64:65], v[64:65], v[76:77]
	v_add_f64 v[98:99], v[106:107], v[98:99]
	v_mul_f64 v[106:107], v[122:123], s[24:25]
	v_mul_f64 v[76:77], v[112:113], s[24:25]
	v_fma_f64 v[122:123], v[58:59], s[20:21], v[128:129]
	v_add_f64 v[62:63], v[62:63], v[74:75]
	v_mul_f64 v[74:75], v[110:111], s[24:25]
	v_add_f64 v[120:121], v[124:125], v[120:121]
	v_add_f64 v[104:105], v[104:105], v[126:127]
	v_fma_f64 v[128:129], v[60:61], s[22:23], v[114:115]
	v_fma_f64 v[126:127], v[58:59], s[22:23], -v[106:107]
	v_fma_f64 v[124:125], v[64:65], s[22:23], v[76:77]
	v_fma_f64 v[76:77], v[64:65], s[22:23], -v[76:77]
	v_add_f64 v[116:117], v[122:123], v[116:117]
	v_fma_f64 v[122:123], v[62:63], s[22:23], -v[74:75]
	v_fma_f64 v[74:75], v[62:63], s[22:23], v[74:75]
	v_fma_f64 v[58:59], v[58:59], s[22:23], v[106:107]
	v_fma_f64 v[60:61], v[60:61], s[22:23], -v[114:115]
	v_mul_f64 v[106:107], v[110:111], s[36:37]
	v_mul_f64 v[114:115], v[112:113], s[36:37]
	v_add_f64 v[76:77], v[76:77], v[78:79]
	v_mul_f64 v[78:79], v[110:111], s[28:29]
	v_add_f64 v[38:39], v[122:123], v[38:39]
	v_add_f64 v[74:75], v[74:75], v[80:81]
	v_mul_f64 v[80:81], v[112:113], s[28:29]
	v_add_f64 v[30:31], v[58:59], v[30:31]
	v_add_f64 v[32:33], v[60:61], v[32:33]
	v_fma_f64 v[58:59], v[62:63], s[10:11], -v[106:107]
	v_fma_f64 v[60:61], v[64:65], s[10:11], v[114:115]
	v_fma_f64 v[106:107], v[62:63], s[10:11], v[106:107]
	v_fma_f64 v[114:115], v[64:65], s[10:11], -v[114:115]
	v_fma_f64 v[122:123], v[62:63], s[20:21], -v[78:79]
	v_add_f64 v[56:57], v[124:125], v[56:57]
	v_fma_f64 v[124:125], v[64:65], s[20:21], v[80:81]
	v_fma_f64 v[78:79], v[62:63], s[20:21], v[78:79]
	v_add_f64 v[100:101], v[132:133], v[100:101]
	v_add_f64 v[58:59], v[58:59], v[82:83]
	;; [unrolled: 1-line block ×5, first 2 shown]
	v_add_f64 v[122:123], v[68:69], -v[72:73]
	v_mul_f64 v[82:83], v[110:111], s[30:31]
	v_fma_f64 v[80:81], v[64:65], s[20:21], -v[80:81]
	v_add_f64 v[104:105], v[124:125], v[104:105]
	v_add_f64 v[78:79], v[78:79], v[98:99]
	v_add_f64 v[124:125], v[66:67], -v[70:71]
	v_mul_f64 v[96:97], v[110:111], s[18:19]
	v_mul_f64 v[98:99], v[112:113], s[18:19]
	v_add_f64 v[66:67], v[66:67], v[70:71]
	v_mul_f64 v[70:71], v[122:123], s[30:31]
	v_add_f64 v[108:109], v[126:127], v[108:109]
	v_add_f64 v[118:119], v[128:129], v[118:119]
	;; [unrolled: 1-line block ×3, first 2 shown]
	v_mul_f64 v[92:93], v[112:113], s[30:31]
	v_fma_f64 v[126:127], v[62:63], s[26:27], -v[82:83]
	v_add_f64 v[80:81], v[80:81], v[100:101]
	v_fma_f64 v[82:83], v[62:63], s[26:27], v[82:83]
	v_add_f64 v[68:69], v[68:69], v[72:73]
	v_mul_f64 v[72:73], v[124:125], s[30:31]
	v_fma_f64 v[100:101], v[62:63], s[2:3], -v[96:97]
	v_fma_f64 v[102:103], v[64:65], s[2:3], v[98:99]
	v_fma_f64 v[62:63], v[62:63], s[2:3], v[96:97]
	v_fma_f64 v[96:97], v[66:67], s[26:27], -v[70:71]
	v_fma_f64 v[128:129], v[64:65], s[26:27], v[92:93]
	v_fma_f64 v[92:93], v[64:65], s[26:27], -v[92:93]
	v_add_f64 v[82:83], v[82:83], v[116:117]
	v_fma_f64 v[64:65], v[64:65], s[2:3], -v[98:99]
	v_fma_f64 v[98:99], v[68:69], s[26:27], v[72:73]
	v_add_f64 v[112:113], v[100:101], v[108:109]
	v_add_f64 v[116:117], v[102:103], v[118:119]
	v_mul_f64 v[100:101], v[122:123], s[34:35]
	v_mul_f64 v[102:103], v[124:125], s[34:35]
	v_add_f64 v[118:119], v[62:63], v[30:31]
	v_add_f64 v[30:31], v[96:97], v[38:39]
	v_fma_f64 v[38:39], v[66:67], s[26:27], v[70:71]
	v_mul_f64 v[70:71], v[122:123], s[24:25]
	v_add_f64 v[92:93], v[92:93], v[120:121]
	v_add_f64 v[120:121], v[64:65], v[32:33]
	v_add_f64 v[32:33], v[98:99], v[56:57]
	v_fma_f64 v[56:57], v[68:69], s[26:27], -v[72:73]
	v_fma_f64 v[62:63], v[66:67], s[20:21], -v[100:101]
	v_fma_f64 v[64:65], v[68:69], s[20:21], v[102:103]
	v_mul_f64 v[72:73], v[124:125], s[24:25]
	v_fma_f64 v[96:97], v[66:67], s[20:21], v[100:101]
	v_add_f64 v[100:101], v[38:39], v[74:75]
	v_fma_f64 v[38:39], v[66:67], s[22:23], -v[70:71]
	v_fma_f64 v[98:99], v[68:69], s[20:21], -v[102:103]
	v_add_f64 v[102:103], v[56:57], v[76:77]
	v_add_f64 v[56:57], v[62:63], v[58:59]
	;; [unrolled: 1-line block ×3, first 2 shown]
	v_fma_f64 v[62:63], v[68:69], s[22:23], v[72:73]
	v_fma_f64 v[64:65], v[66:67], s[22:23], v[70:71]
	v_fma_f64 v[70:71], v[68:69], s[22:23], -v[72:73]
	v_mul_f64 v[72:73], v[122:123], s[18:19]
	v_mul_f64 v[74:75], v[124:125], s[18:19]
	v_add_f64 v[60:61], v[38:39], v[114:115]
	v_mul_f64 v[38:39], v[122:123], s[16:17]
	v_mul_f64 v[76:77], v[124:125], s[16:17]
	v_add_f64 v[88:89], v[126:127], v[88:89]
	v_add_f64 v[90:91], v[128:129], v[90:91]
	;; [unrolled: 1-line block ×4, first 2 shown]
	v_fma_f64 v[64:65], v[66:67], s[2:3], -v[72:73]
	v_fma_f64 v[70:71], v[68:69], s[2:3], v[74:75]
	v_fma_f64 v[78:79], v[66:67], s[10:11], -v[38:39]
	v_fma_f64 v[80:81], v[68:69], s[10:11], v[76:77]
	v_fma_f64 v[38:39], v[66:67], s[10:11], v[38:39]
	v_fma_f64 v[76:77], v[68:69], s[10:11], -v[76:77]
	v_fma_f64 v[72:73], v[66:67], s[2:3], v[72:73]
	v_fma_f64 v[74:75], v[68:69], s[2:3], -v[74:75]
	v_add_f64 v[62:63], v[62:63], v[104:105]
	v_add_f64 v[64:65], v[64:65], v[88:89]
	;; [unrolled: 1-line block ×11, first 2 shown]
	ds_write_b128 v247, v[34:37]
	ds_write_b128 v247, v[30:33] offset:208
	ds_write_b128 v247, v[56:59] offset:416
	;; [unrolled: 1-line block ×10, first 2 shown]
	s_waitcnt lgkmcnt(0)
	s_barrier
	ds_read_b128 v[92:95], v245
	ds_read_b128 v[128:131], v245 offset:2288
	ds_read_b128 v[124:127], v245 offset:4576
	;; [unrolled: 1-line block ×5, first 2 shown]
	s_movk_i32 s2, 0x41
	v_cmp_gt_u16_e64 s[2:3], s2, v219
	s_and_saveexec_b64 s[10:11], s[2:3]
	s_cbranch_execz .LBB0_9
; %bb.8:
	ds_read_b128 v[88:91], v245 offset:1248
	ds_read_b128 v[104:107], v245 offset:3536
	;; [unrolled: 1-line block ×6, first 2 shown]
.LBB0_9:
	s_or_b64 exec, exec, s[10:11]
	v_add_u32_e32 v28, 0x4e, v219
	v_add_u32_e32 v29, 0xffffffbf, v219
	v_cndmask_b32_e64 v28, v29, v28, s[2:3]
	v_mul_hi_i32_i24_e32 v29, 0x50, v28
	v_mul_i32_i24_e32 v28, 0x50, v28
	v_mov_b32_e32 v33, s9
	s_movk_i32 s10, 0x50
	v_mov_b32_e32 v30, s9
	v_add_co_u32_e32 v60, vcc, s8, v28
	v_mov_b32_e32 v32, s8
	v_addc_co_u32_e32 v61, vcc, v30, v29, vcc
	v_mad_u64_u32 v[62:63], s[8:9], v219, s10, v[32:33]
	global_load_dwordx4 v[28:31], v[60:61], off offset:2112
	global_load_dwordx4 v[36:39], v[60:61], off offset:2096
	;; [unrolled: 1-line block ×9, first 2 shown]
	s_nop 0
	global_load_dwordx4 v[60:63], v[60:61], off offset:2080
	s_mov_b32 s8, 0xe8584caa
	s_mov_b32 s9, 0x3febb67a
	;; [unrolled: 1-line block ×4, first 2 shown]
	v_lshl_add_u32 v246, v219, 4, v251
	s_waitcnt vmcnt(7) lgkmcnt(1)
	v_mul_f64 v[140:141], v[102:103], v[34:35]
	v_mul_f64 v[142:143], v[100:101], v[34:35]
	s_waitcnt vmcnt(6) lgkmcnt(0)
	v_mul_f64 v[144:145], v[86:87], v[58:59]
	v_mul_f64 v[146:147], v[84:85], v[58:59]
	s_waitcnt vmcnt(5)
	v_mul_f64 v[151:152], v[128:129], v[66:67]
	v_mul_f64 v[136:137], v[98:99], v[30:31]
	v_mul_f64 v[132:133], v[110:111], v[38:39]
	v_mul_f64 v[134:135], v[108:109], v[38:39]
	v_mul_f64 v[138:139], v[96:97], v[30:31]
	s_waitcnt vmcnt(3)
	v_mul_f64 v[157:158], v[122:123], v[70:71]
	v_mul_f64 v[159:160], v[120:121], v[70:71]
	s_waitcnt vmcnt(1)
	v_mul_f64 v[165:166], v[114:115], v[74:75]
	v_mul_f64 v[167:168], v[112:113], v[74:75]
	;; [unrolled: 1-line block ×7, first 2 shown]
	s_waitcnt vmcnt(0)
	v_mul_f64 v[169:170], v[106:107], v[62:63]
	v_mul_f64 v[171:172], v[104:105], v[62:63]
	v_fma_f64 v[108:109], v[108:109], v[36:37], -v[132:133]
	v_fma_f64 v[110:111], v[110:111], v[36:37], v[134:135]
	v_fma_f64 v[96:97], v[96:97], v[28:29], -v[136:137]
	v_fma_f64 v[98:99], v[98:99], v[28:29], v[138:139]
	;; [unrolled: 2-line block ×4, first 2 shown]
	v_fma_f64 v[130:131], v[130:131], v[64:65], v[151:152]
	v_fma_f64 v[120:121], v[120:121], v[68:69], -v[157:158]
	v_fma_f64 v[122:123], v[122:123], v[68:69], v[159:160]
	v_fma_f64 v[112:113], v[112:113], v[72:73], -v[165:166]
	;; [unrolled: 2-line block ×3, first 2 shown]
	v_fma_f64 v[124:125], v[124:125], v[80:81], -v[153:154]
	v_fma_f64 v[126:127], v[126:127], v[80:81], v[155:156]
	v_fma_f64 v[116:117], v[116:117], v[76:77], -v[161:162]
	v_fma_f64 v[118:119], v[118:119], v[76:77], v[163:164]
	;; [unrolled: 2-line block ×3, first 2 shown]
	v_add_f64 v[132:133], v[88:89], v[108:109]
	v_add_f64 v[134:135], v[108:109], v[100:101]
	v_add_f64 v[136:137], v[110:111], -v[102:103]
	v_add_f64 v[138:139], v[90:91], v[110:111]
	v_add_f64 v[110:111], v[110:111], v[102:103]
	v_add_f64 v[140:141], v[108:109], -v[100:101]
	v_add_f64 v[108:109], v[96:97], v[84:85]
	v_add_f64 v[144:145], v[98:99], v[86:87]
	;; [unrolled: 1-line block ×3, first 2 shown]
	v_add_f64 v[161:162], v[122:123], -v[114:115]
	v_add_f64 v[163:164], v[130:131], v[122:123]
	v_add_f64 v[122:123], v[122:123], v[114:115]
	v_add_f64 v[146:147], v[96:97], -v[84:85]
	v_add_f64 v[149:150], v[92:93], v[124:125]
	v_add_f64 v[155:156], v[94:95], v[126:127]
	;; [unrolled: 1-line block ×3, first 2 shown]
	v_add_f64 v[120:121], v[120:121], -v[112:113]
	v_add_f64 v[165:166], v[104:105], v[96:97]
	v_add_f64 v[167:168], v[106:107], v[98:99]
	v_fma_f64 v[110:111], v[110:111], -0.5, v[90:91]
	v_fma_f64 v[90:91], v[108:109], -0.5, v[104:105]
	;; [unrolled: 1-line block ×5, first 2 shown]
	v_add_f64 v[142:143], v[98:99], -v[86:87]
	v_add_f64 v[151:152], v[124:125], v[116:117]
	v_add_f64 v[153:154], v[126:127], -v[118:119]
	v_add_f64 v[126:127], v[126:127], v[118:119]
	;; [unrolled: 2-line block ×3, first 2 shown]
	v_add_f64 v[98:99], v[149:150], v[116:117]
	v_add_f64 v[100:101], v[155:156], v[118:119]
	v_fma_f64 v[116:117], v[146:147], s[10:11], v[96:97]
	v_fma_f64 v[118:119], v[146:147], s[8:9], v[96:97]
	;; [unrolled: 1-line block ×6, first 2 shown]
	v_fma_f64 v[88:89], v[134:135], -0.5, v[88:89]
	v_add_f64 v[134:135], v[138:139], v[102:103]
	v_fma_f64 v[92:93], v[151:152], -0.5, v[92:93]
	v_add_f64 v[102:103], v[157:158], v[112:113]
	v_add_f64 v[108:109], v[163:164], v[114:115]
	v_fma_f64 v[112:113], v[142:143], s[8:9], v[90:91]
	v_fma_f64 v[114:115], v[142:143], s[10:11], v[90:91]
	v_mul_f64 v[138:139], v[96:97], s[8:9]
	v_mul_f64 v[142:143], v[122:123], -0.5
	v_mul_f64 v[144:145], v[104:105], s[10:11]
	v_mul_f64 v[146:147], v[106:107], -0.5
	v_fma_f64 v[94:95], v[126:127], -0.5, v[94:95]
	v_fma_f64 v[128:129], v[153:154], s[10:11], v[92:93]
	v_mul_f64 v[149:150], v[118:119], -0.5
	v_fma_f64 v[126:127], v[136:137], s[8:9], v[88:89]
	v_fma_f64 v[104:105], v[104:105], 0.5, v[138:139]
	v_fma_f64 v[106:107], v[106:107], s[8:9], v[142:143]
	v_fma_f64 v[138:139], v[96:97], 0.5, v[144:145]
	v_fma_f64 v[122:123], v[122:123], s[10:11], v[146:147]
	v_mul_f64 v[142:143], v[116:117], s[8:9]
	v_mul_f64 v[144:145], v[114:115], -0.5
	v_mul_f64 v[146:147], v[112:113], s[10:11]
	v_fma_f64 v[130:131], v[136:137], s[10:11], v[88:89]
	v_fma_f64 v[120:121], v[153:154], s[8:9], v[92:93]
	;; [unrolled: 1-line block ×4, first 2 shown]
	v_add_f64 v[90:91], v[100:101], v[108:109]
	v_add_f64 v[94:95], v[100:101], -v[108:109]
	v_add_f64 v[100:101], v[128:129], v[106:107]
	v_add_f64 v[108:109], v[128:129], -v[106:107]
	v_fma_f64 v[151:152], v[140:141], s[10:11], v[110:111]
	v_fma_f64 v[140:141], v[140:141], s[8:9], v[110:111]
	v_add_f64 v[84:85], v[165:166], v[84:85]
	v_fma_f64 v[128:129], v[112:113], 0.5, v[142:143]
	v_fma_f64 v[142:143], v[118:119], s[8:9], v[144:145]
	v_add_f64 v[86:87], v[167:168], v[86:87]
	v_fma_f64 v[144:145], v[116:117], 0.5, v[146:147]
	v_fma_f64 v[146:147], v[114:115], s[10:11], v[149:150]
	v_add_f64 v[88:89], v[98:99], v[102:103]
	v_add_f64 v[92:93], v[98:99], -v[102:103]
	v_add_f64 v[96:97], v[120:121], v[104:105]
	v_add_f64 v[98:99], v[136:137], v[138:139]
	;; [unrolled: 1-line block ×3, first 2 shown]
	v_add_f64 v[104:105], v[120:121], -v[104:105]
	v_add_f64 v[106:107], v[136:137], -v[138:139]
	;; [unrolled: 1-line block ×3, first 2 shown]
	v_add_f64 v[112:113], v[132:133], v[84:85]
	v_add_f64 v[116:117], v[126:127], v[128:129]
	;; [unrolled: 1-line block ×6, first 2 shown]
	v_add_f64 v[124:125], v[132:133], -v[84:85]
	v_add_f64 v[128:129], v[126:127], -v[128:129]
	;; [unrolled: 1-line block ×6, first 2 shown]
	ds_write_b128 v246, v[88:91]
	ds_write_b128 v246, v[96:99] offset:2288
	ds_write_b128 v246, v[100:103] offset:4576
	;; [unrolled: 1-line block ×5, first 2 shown]
	s_and_saveexec_b64 s[8:9], s[2:3]
	s_cbranch_execz .LBB0_11
; %bb.10:
	ds_write_b128 v246, v[112:115] offset:1248
	ds_write_b128 v246, v[116:119] offset:3536
	ds_write_b128 v246, v[120:123] offset:5824
	ds_write_b128 v246, v[124:127] offset:8112
	ds_write_b128 v246, v[128:131] offset:10400
	ds_write_b128 v246, v[132:135] offset:12688
.LBB0_11:
	s_or_b64 exec, exec, s[8:9]
	s_waitcnt lgkmcnt(0)
	s_barrier
	s_and_saveexec_b64 s[8:9], s[0:1]
	s_cbranch_execz .LBB0_13
; %bb.12:
	v_add_co_u32_e32 v84, vcc, s14, v220
	v_mov_b32_e32 v85, s15
	v_addc_co_u32_e32 v85, vcc, 0, v85, vcc
	v_add_co_u32_e32 v86, vcc, 0x35a0, v84
	v_addc_co_u32_e32 v87, vcc, 0, v85, vcc
	v_add_co_u32_e32 v140, vcc, 0x3000, v84
	v_addc_co_u32_e32 v141, vcc, 0, v85, vcc
	global_load_dwordx4 v[140:143], v[140:141], off offset:1440
	ds_read_b128 v[136:139], v246
	s_movk_i32 s10, 0x4000
	s_waitcnt vmcnt(0) lgkmcnt(0)
	v_mul_f64 v[144:145], v[138:139], v[142:143]
	v_fma_f64 v[144:145], v[136:137], v[140:141], -v[144:145]
	v_mul_f64 v[136:137], v[136:137], v[142:143]
	v_fma_f64 v[146:147], v[138:139], v[140:141], v[136:137]
	global_load_dwordx4 v[140:143], v[86:87], off offset:1056
	ds_read_b128 v[136:139], v246 offset:1056
	ds_write_b128 v246, v[144:147]
	s_waitcnt vmcnt(0) lgkmcnt(1)
	v_mul_f64 v[144:145], v[138:139], v[142:143]
	v_fma_f64 v[144:145], v[136:137], v[140:141], -v[144:145]
	v_mul_f64 v[136:137], v[136:137], v[142:143]
	v_fma_f64 v[146:147], v[138:139], v[140:141], v[136:137]
	global_load_dwordx4 v[140:143], v[86:87], off offset:2112
	ds_read_b128 v[136:139], v246 offset:2112
	ds_write_b128 v246, v[144:147] offset:1056
	s_waitcnt vmcnt(0) lgkmcnt(1)
	v_mul_f64 v[144:145], v[138:139], v[142:143]
	v_fma_f64 v[144:145], v[136:137], v[140:141], -v[144:145]
	v_mul_f64 v[136:137], v[136:137], v[142:143]
	v_fma_f64 v[146:147], v[138:139], v[140:141], v[136:137]
	global_load_dwordx4 v[140:143], v[86:87], off offset:3168
	ds_read_b128 v[136:139], v246 offset:3168
	ds_write_b128 v246, v[144:147] offset:2112
	s_waitcnt vmcnt(0) lgkmcnt(1)
	v_mul_f64 v[86:87], v[138:139], v[142:143]
	v_fma_f64 v[144:145], v[136:137], v[140:141], -v[86:87]
	v_mul_f64 v[86:87], v[136:137], v[142:143]
	v_fma_f64 v[146:147], v[138:139], v[140:141], v[86:87]
	v_add_co_u32_e32 v86, vcc, s10, v84
	v_addc_co_u32_e32 v87, vcc, 0, v85, vcc
	global_load_dwordx4 v[140:143], v[86:87], off offset:1568
	ds_read_b128 v[136:139], v246 offset:4224
	s_movk_i32 s10, 0x5000
	ds_write_b128 v246, v[144:147] offset:3168
	s_waitcnt vmcnt(0) lgkmcnt(1)
	v_mul_f64 v[144:145], v[138:139], v[142:143]
	v_fma_f64 v[144:145], v[136:137], v[140:141], -v[144:145]
	v_mul_f64 v[136:137], v[136:137], v[142:143]
	v_fma_f64 v[146:147], v[138:139], v[140:141], v[136:137]
	global_load_dwordx4 v[140:143], v[86:87], off offset:2624
	ds_read_b128 v[136:139], v246 offset:5280
	ds_write_b128 v246, v[144:147] offset:4224
	s_waitcnt vmcnt(0) lgkmcnt(1)
	v_mul_f64 v[144:145], v[138:139], v[142:143]
	v_fma_f64 v[144:145], v[136:137], v[140:141], -v[144:145]
	v_mul_f64 v[136:137], v[136:137], v[142:143]
	v_fma_f64 v[146:147], v[138:139], v[140:141], v[136:137]
	global_load_dwordx4 v[140:143], v[86:87], off offset:3680
	ds_read_b128 v[136:139], v246 offset:6336
	ds_write_b128 v246, v[144:147] offset:5280
	s_waitcnt vmcnt(0) lgkmcnt(1)
	v_mul_f64 v[86:87], v[138:139], v[142:143]
	v_fma_f64 v[144:145], v[136:137], v[140:141], -v[86:87]
	v_mul_f64 v[86:87], v[136:137], v[142:143]
	v_fma_f64 v[146:147], v[138:139], v[140:141], v[86:87]
	v_add_co_u32_e32 v86, vcc, s10, v84
	v_addc_co_u32_e32 v87, vcc, 0, v85, vcc
	global_load_dwordx4 v[140:143], v[86:87], off offset:640
	ds_read_b128 v[136:139], v246 offset:7392
	s_movk_i32 s10, 0x6000
	ds_write_b128 v246, v[144:147] offset:6336
	s_waitcnt vmcnt(0) lgkmcnt(1)
	v_mul_f64 v[144:145], v[138:139], v[142:143]
	v_fma_f64 v[144:145], v[136:137], v[140:141], -v[144:145]
	v_mul_f64 v[136:137], v[136:137], v[142:143]
	v_fma_f64 v[146:147], v[138:139], v[140:141], v[136:137]
	global_load_dwordx4 v[140:143], v[86:87], off offset:1696
	ds_read_b128 v[136:139], v246 offset:8448
	ds_write_b128 v246, v[144:147] offset:7392
	s_waitcnt vmcnt(0) lgkmcnt(1)
	v_mul_f64 v[144:145], v[138:139], v[142:143]
	v_fma_f64 v[144:145], v[136:137], v[140:141], -v[144:145]
	v_mul_f64 v[136:137], v[136:137], v[142:143]
	v_fma_f64 v[146:147], v[138:139], v[140:141], v[136:137]
	global_load_dwordx4 v[140:143], v[86:87], off offset:2752
	ds_read_b128 v[136:139], v246 offset:9504
	;; [unrolled: 8-line block ×3, first 2 shown]
	ds_write_b128 v246, v[144:147] offset:9504
	s_waitcnt vmcnt(0) lgkmcnt(1)
	v_mul_f64 v[86:87], v[138:139], v[142:143]
	v_fma_f64 v[144:145], v[136:137], v[140:141], -v[86:87]
	v_mul_f64 v[86:87], v[136:137], v[142:143]
	v_fma_f64 v[146:147], v[138:139], v[140:141], v[86:87]
	ds_read_b128 v[136:139], v246 offset:11616
	ds_write_b128 v246, v[144:147] offset:10560
	v_add_co_u32_e32 v144, vcc, s10, v84
	v_addc_co_u32_e32 v145, vcc, 0, v85, vcc
	global_load_dwordx4 v[84:87], v[144:145], off offset:768
	s_waitcnt vmcnt(0) lgkmcnt(1)
	v_mul_f64 v[140:141], v[138:139], v[86:87]
	v_mul_f64 v[86:87], v[136:137], v[86:87]
	v_fma_f64 v[140:141], v[136:137], v[84:85], -v[140:141]
	v_fma_f64 v[142:143], v[138:139], v[84:85], v[86:87]
	global_load_dwordx4 v[136:139], v[144:145], off offset:1824
	ds_read_b128 v[84:87], v246 offset:12672
	ds_write_b128 v246, v[140:143] offset:11616
	s_waitcnt vmcnt(0) lgkmcnt(1)
	v_mul_f64 v[140:141], v[86:87], v[138:139]
	v_fma_f64 v[140:141], v[84:85], v[136:137], -v[140:141]
	v_mul_f64 v[84:85], v[84:85], v[138:139]
	v_fma_f64 v[142:143], v[86:87], v[136:137], v[84:85]
	ds_write_b128 v246, v[140:143] offset:12672
.LBB0_13:
	s_or_b64 exec, exec, s[8:9]
	s_waitcnt lgkmcnt(0)
	s_barrier
	s_and_saveexec_b64 s[8:9], s[0:1]
	s_cbranch_execz .LBB0_15
; %bb.14:
	ds_read_b128 v[88:91], v246
	ds_read_b128 v[96:99], v246 offset:1056
	ds_read_b128 v[100:103], v246 offset:2112
	;; [unrolled: 1-line block ×12, first 2 shown]
.LBB0_15:
	s_or_b64 exec, exec, s[8:9]
	s_waitcnt lgkmcnt(0)
	v_add_f64 v[153:154], v[98:99], -v[2:3]
	v_add_f64 v[151:152], v[98:99], v[2:3]
	s_mov_b32 s8, 0x1ea71119
	s_mov_b32 s10, 0x42a4c3d2
	;; [unrolled: 1-line block ×4, first 2 shown]
	v_add_f64 v[149:150], v[96:97], v[0:1]
	v_add_f64 v[191:192], v[96:97], -v[0:1]
	v_mul_f64 v[189:190], v[153:154], s[10:11]
	v_mul_f64 v[197:198], v[151:152], s[8:9]
	v_add_f64 v[159:160], v[102:103], -v[134:135]
	v_add_f64 v[157:158], v[102:103], v[134:135]
	s_mov_b32 s22, 0x2ef20147
	s_mov_b32 s18, 0xb2365da1
	;; [unrolled: 1-line block ×4, first 2 shown]
	v_add_f64 v[155:156], v[100:101], v[132:133]
	v_add_f64 v[199:200], v[100:101], -v[132:133]
	v_fma_f64 v[84:85], v[149:150], s[8:9], -v[189:190]
	v_fma_f64 v[86:87], v[191:192], s[10:11], v[197:198]
	v_mul_f64 v[183:184], v[159:160], s[22:23]
	v_mul_f64 v[217:218], v[157:158], s[18:19]
	v_add_f64 v[165:166], v[94:95], -v[130:131]
	v_add_f64 v[163:164], v[94:95], v[130:131]
	s_mov_b32 s16, 0x93053d00
	s_mov_b32 s26, 0x4bc48dbf
	;; [unrolled: 1-line block ×4, first 2 shown]
	v_fma_f64 v[136:137], v[155:156], s[18:19], -v[183:184]
	v_add_f64 v[84:85], v[88:89], v[84:85]
	v_add_f64 v[86:87], v[90:91], v[86:87]
	v_fma_f64 v[138:139], v[199:200], s[22:23], v[217:218]
	v_add_f64 v[161:162], v[92:93], v[128:129]
	v_add_f64 v[181:182], v[92:93], -v[128:129]
	v_mul_f64 v[140:141], v[165:166], s[26:27]
	v_mul_f64 v[211:212], v[163:164], s[16:17]
	v_add_f64 v[175:176], v[106:107], -v[126:127]
	v_add_f64 v[169:170], v[106:107], v[126:127]
	s_mov_b32 s24, 0xd0032e0c
	s_mov_b32 s25, 0xbfe7f3cc
	v_add_f64 v[84:85], v[136:137], v[84:85]
	v_add_f64 v[86:87], v[138:139], v[86:87]
	v_fma_f64 v[136:137], v[161:162], s[16:17], -v[140:141]
	v_fma_f64 v[138:139], v[181:182], s[26:27], v[211:212]
	v_add_f64 v[167:168], v[104:105], v[124:125]
	v_add_f64 v[187:188], v[104:105], -v[124:125]
	v_mul_f64 v[142:143], v[175:176], s[40:41]
	v_mul_f64 v[223:224], v[169:170], s[24:25]
	v_add_f64 v[185:186], v[110:111], -v[122:123]
	v_add_f64 v[173:174], v[110:111], v[122:123]
	s_mov_b32 s28, 0xebaa3ed8
	s_mov_b32 s29, 0x3fbedb7d
	;; [unrolled: 1-line block ×4, first 2 shown]
	v_add_f64 v[84:85], v[136:137], v[84:85]
	v_add_f64 v[86:87], v[138:139], v[86:87]
	v_fma_f64 v[136:137], v[167:168], s[24:25], -v[142:143]
	v_fma_f64 v[138:139], v[187:188], s[40:41], v[223:224]
	v_add_f64 v[171:172], v[108:109], v[120:121]
	v_add_f64 v[193:194], v[108:109], -v[120:121]
	v_mul_f64 v[144:145], v[185:186], s[30:31]
	v_mul_f64 v[225:226], v[173:174], s[28:29]
	v_add_f64 v[195:196], v[114:115], -v[118:119]
	v_add_f64 v[179:180], v[114:115], v[118:119]
	s_mov_b32 s34, 0xe00740e9
	s_mov_b32 s35, 0x3fec55a7
	;; [unrolled: 1-line block ×4, first 2 shown]
	v_add_f64 v[84:85], v[136:137], v[84:85]
	v_add_f64 v[86:87], v[138:139], v[86:87]
	v_fma_f64 v[136:137], v[171:172], s[28:29], -v[144:145]
	v_fma_f64 v[138:139], v[193:194], s[30:31], v[225:226]
	v_add_f64 v[177:178], v[112:113], v[116:117]
	v_add_f64 v[201:202], v[112:113], -v[116:117]
	v_mul_f64 v[146:147], v[195:196], s[36:37]
	v_mul_f64 v[233:234], v[179:180], s[34:35]
	s_barrier
	v_add_f64 v[84:85], v[136:137], v[84:85]
	v_add_f64 v[86:87], v[138:139], v[86:87]
	v_fma_f64 v[136:137], v[177:178], s[34:35], -v[146:147]
	v_fma_f64 v[138:139], v[201:202], s[36:37], v[233:234]
	v_add_f64 v[84:85], v[136:137], v[84:85]
	v_add_f64 v[86:87], v[138:139], v[86:87]
	s_and_saveexec_b64 s[20:21], s[0:1]
	s_cbranch_execz .LBB0_17
; %bb.16:
	v_mul_f64 v[136:137], v[149:150], s[8:9]
	v_mul_f64 v[138:139], v[193:194], s[30:31]
	s_mov_b32 s39, 0xbfe5384d
	s_mov_b32 s38, s40
	v_mul_f64 v[241:242], v[159:160], s[36:37]
	v_mul_f64 v[248:249], v[181:182], s[38:39]
	s_mov_b32 s43, 0x3fea55e2
	s_mov_b32 s42, s10
	buffer_store_dword v136, off, s[52:55], 0 offset:120 ; 4-byte Folded Spill
	s_nop 0
	buffer_store_dword v137, off, s[52:55], 0 offset:124 ; 4-byte Folded Spill
	v_mul_f64 v[136:137], v[191:192], s[10:11]
	v_mul_f64 v[221:222], v[175:176], s[42:43]
	s_mov_b32 s45, 0x3fcea1e5
	s_mov_b32 s44, s26
	v_fma_f64 v[213:214], v[163:164], s[24:25], v[248:249]
	v_mul_f64 v[235:236], v[165:166], s[10:11]
	v_mul_f64 v[231:232], v[175:176], s[44:45]
	v_add_f64 v[98:99], v[90:91], v[98:99]
	buffer_store_dword v136, off, s[52:55], 0 offset:144 ; 4-byte Folded Spill
	s_nop 0
	buffer_store_dword v137, off, s[52:55], 0 offset:148 ; 4-byte Folded Spill
	v_mul_f64 v[136:137], v[155:156], s[18:19]
	v_add_f64 v[96:97], v[88:89], v[96:97]
	buffer_store_dword v136, off, s[52:55], 0 offset:96 ; 4-byte Folded Spill
	s_nop 0
	buffer_store_dword v137, off, s[52:55], 0 offset:100 ; 4-byte Folded Spill
	v_mul_f64 v[136:137], v[199:200], s[22:23]
	v_add_f64 v[98:99], v[98:99], v[102:103]
	v_add_f64 v[96:97], v[96:97], v[100:101]
	buffer_store_dword v136, off, s[52:55], 0 offset:136 ; 4-byte Folded Spill
	s_nop 0
	buffer_store_dword v137, off, s[52:55], 0 offset:140 ; 4-byte Folded Spill
	v_mul_f64 v[136:137], v[161:162], s[16:17]
	v_add_f64 v[94:95], v[98:99], v[94:95]
	;; [unrolled: 6-line block ×4, first 2 shown]
	v_add_f64 v[94:95], v[94:95], v[110:111]
	v_mul_f64 v[110:111], v[195:196], s[26:27]
	buffer_store_dword v136, off, s[52:55], 0 offset:24 ; 4-byte Folded Spill
	s_nop 0
	buffer_store_dword v137, off, s[52:55], 0 offset:28 ; 4-byte Folded Spill
	v_mul_f64 v[136:137], v[187:188], s[40:41]
	v_add_f64 v[104:105], v[104:105], v[112:113]
	v_add_f64 v[94:95], v[94:95], v[114:115]
	buffer_store_dword v136, off, s[52:55], 0 offset:104 ; 4-byte Folded Spill
	s_nop 0
	buffer_store_dword v137, off, s[52:55], 0 offset:108 ; 4-byte Folded Spill
	v_mul_f64 v[136:137], v[171:172], s[28:29]
	v_add_f64 v[104:105], v[104:105], v[116:117]
	v_add_f64 v[94:95], v[94:95], v[118:119]
	buffer_store_dword v136, off, s[52:55], 0 offset:16 ; 4-byte Folded Spill
	s_nop 0
	buffer_store_dword v137, off, s[52:55], 0 offset:20 ; 4-byte Folded Spill
	buffer_store_dword v138, off, s[52:55], 0 offset:128 ; 4-byte Folded Spill
	s_nop 0
	buffer_store_dword v139, off, s[52:55], 0 offset:132 ; 4-byte Folded Spill
	v_mul_f64 v[138:139], v[177:178], s[34:35]
	v_mul_f64 v[136:137], v[191:192], s[26:27]
	v_add_f64 v[94:95], v[94:95], v[122:123]
	v_add_f64 v[104:105], v[104:105], v[120:121]
	buffer_store_dword v138, off, s[52:55], 0 offset:40 ; 4-byte Folded Spill
	s_nop 0
	buffer_store_dword v139, off, s[52:55], 0 offset:44 ; 4-byte Folded Spill
	buffer_store_dword v140, off, s[52:55], 0 offset:64 ; 4-byte Folded Spill
	s_nop 0
	buffer_store_dword v141, off, s[52:55], 0 offset:68 ; 4-byte Folded Spill
	;; [unrolled: 3-line block ×3, first 2 shown]
	v_mul_f64 v[142:143], v[153:154], s[26:27]
	buffer_store_dword v144, off, s[52:55], 0 offset:80 ; 4-byte Folded Spill
	s_nop 0
	buffer_store_dword v145, off, s[52:55], 0 offset:84 ; 4-byte Folded Spill
	buffer_store_dword v146, off, s[52:55], 0 offset:72 ; 4-byte Folded Spill
	s_nop 0
	buffer_store_dword v147, off, s[52:55], 0 offset:76 ; 4-byte Folded Spill
	v_mul_f64 v[144:145], v[199:200], s[36:37]
	v_fma_f64 v[146:147], v[151:152], s[16:17], v[136:137]
	buffer_store_dword v251, off, s[52:55], 0 offset:8 ; 4-byte Folded Spill
	buffer_store_dword v252, off, s[52:55], 0 offset:12 ; 4-byte Folded Spill
	buffer_store_dword v219, off, s[52:55], 0 ; 4-byte Folded Spill
	buffer_store_dword v220, off, s[52:55], 0 offset:4 ; 4-byte Folded Spill
	v_fma_f64 v[243:244], v[149:150], s[16:17], -v[142:143]
	buffer_store_dword v183, off, s[52:55], 0 offset:152 ; 4-byte Folded Spill
	s_nop 0
	buffer_store_dword v184, off, s[52:55], 0 offset:156 ; 4-byte Folded Spill
	v_mul_f64 v[219:220], v[165:166], s[38:39]
	v_fma_f64 v[250:251], v[157:158], s[34:35], v[144:145]
	v_add_f64 v[146:147], v[90:91], v[146:147]
	v_fma_f64 v[183:184], v[155:156], s[34:35], -v[241:242]
	v_fma_f64 v[136:137], v[151:152], s[16:17], -v[136:137]
	v_mul_f64 v[252:253], v[187:188], s[42:43]
	v_add_f64 v[243:244], v[88:89], v[243:244]
	v_fma_f64 v[142:143], v[149:150], s[16:17], v[142:143]
	v_fma_f64 v[227:228], v[161:162], s[24:25], -v[219:220]
	v_fma_f64 v[144:145], v[157:158], s[34:35], -v[144:145]
	v_add_f64 v[146:147], v[250:251], v[146:147]
	v_mul_f64 v[138:139], v[193:194], s[22:23]
	v_add_f64 v[136:137], v[90:91], v[136:137]
	v_fma_f64 v[250:251], v[169:170], s[8:9], v[252:253]
	v_add_f64 v[183:184], v[183:184], v[243:244]
	v_fma_f64 v[241:242], v[155:156], s[34:35], v[241:242]
	v_add_f64 v[142:143], v[88:89], v[142:143]
	v_mul_f64 v[140:141], v[201:202], s[30:31]
	v_add_f64 v[146:147], v[213:214], v[146:147]
	v_fma_f64 v[254:255], v[173:174], s[18:19], v[138:139]
	v_add_f64 v[136:137], v[144:145], v[136:137]
	v_mul_f64 v[213:214], v[185:186], s[22:23]
	v_add_f64 v[183:184], v[227:228], v[183:184]
	v_fma_f64 v[227:228], v[163:164], s[24:25], -v[248:249]
	v_fma_f64 v[243:244], v[167:168], s[8:9], -v[221:222]
	v_add_f64 v[142:143], v[241:242], v[142:143]
	v_add_f64 v[144:145], v[250:251], v[146:147]
	v_fma_f64 v[241:242], v[169:170], s[8:9], -v[252:253]
	v_mul_f64 v[146:147], v[195:196], s[30:31]
	v_fma_f64 v[248:249], v[171:172], s[18:19], -v[213:214]
	v_fma_f64 v[219:220], v[161:162], s[24:25], v[219:220]
	v_add_f64 v[136:137], v[227:228], v[136:137]
	v_add_f64 v[183:184], v[243:244], v[183:184]
	v_fma_f64 v[227:228], v[179:180], s[28:29], v[140:141]
	v_add_f64 v[144:145], v[254:255], v[144:145]
	v_fma_f64 v[221:222], v[167:168], s[8:9], v[221:222]
	v_fma_f64 v[243:244], v[177:178], s[28:29], -v[146:147]
	v_mul_f64 v[252:253], v[187:188], s[44:45]
	v_add_f64 v[142:143], v[219:220], v[142:143]
	v_add_f64 v[241:242], v[241:242], v[136:137]
	v_mul_f64 v[136:137], v[201:202], s[36:37]
	v_add_f64 v[183:184], v[248:249], v[183:184]
	v_fma_f64 v[219:220], v[173:174], s[18:19], -v[138:139]
	v_add_f64 v[138:139], v[227:228], v[144:145]
	v_fma_f64 v[144:145], v[171:172], s[18:19], v[213:214]
	v_mul_f64 v[213:214], v[191:192], s[38:39]
	buffer_store_dword v136, off, s[52:55], 0 offset:160 ; 4-byte Folded Spill
	s_nop 0
	buffer_store_dword v137, off, s[52:55], 0 offset:164 ; 4-byte Folded Spill
	v_add_f64 v[142:143], v[221:222], v[142:143]
	v_add_f64 v[136:137], v[243:244], v[183:184]
	;; [unrolled: 1-line block ×3, first 2 shown]
	v_mul_f64 v[219:220], v[199:200], s[30:31]
	v_fma_f64 v[227:228], v[151:152], s[24:25], v[213:214]
	v_fma_f64 v[221:222], v[177:178], s[28:29], v[146:147]
	v_mul_f64 v[146:147], v[153:154], s[38:39]
	v_mul_f64 v[248:249], v[159:160], s[30:31]
	v_add_f64 v[142:143], v[144:145], v[142:143]
	v_mul_f64 v[144:145], v[181:182], s[10:11]
	v_fma_f64 v[213:214], v[151:152], s[24:25], -v[213:214]
	v_fma_f64 v[243:244], v[157:158], s[28:29], v[219:220]
	v_add_f64 v[227:228], v[90:91], v[227:228]
	v_mul_f64 v[241:242], v[193:194], s[36:37]
	v_fma_f64 v[250:251], v[149:150], s[24:25], -v[146:147]
	v_fma_f64 v[146:147], v[149:150], s[24:25], v[146:147]
	v_fma_f64 v[237:238], v[155:156], s[28:29], -v[248:249]
	v_fma_f64 v[229:230], v[163:164], s[8:9], v[144:145]
	v_fma_f64 v[239:240], v[169:170], s[16:17], v[252:253]
	v_fma_f64 v[219:220], v[157:158], s[28:29], -v[219:220]
	v_add_f64 v[227:228], v[243:244], v[227:228]
	v_add_f64 v[213:214], v[90:91], v[213:214]
	v_add_f64 v[250:251], v[88:89], v[250:251]
	v_fma_f64 v[248:249], v[155:156], s[28:29], v[248:249]
	v_add_f64 v[146:147], v[88:89], v[146:147]
	buffer_store_dword v136, off, s[52:55], 0 offset:48 ; 4-byte Folded Spill
	s_nop 0
	buffer_store_dword v137, off, s[52:55], 0 offset:52 ; 4-byte Folded Spill
	buffer_store_dword v138, off, s[52:55], 0 offset:56 ; 4-byte Folded Spill
	;; [unrolled: 1-line block ×3, first 2 shown]
	v_mov_b32_e32 v136, v189
	v_mul_f64 v[254:255], v[201:202], s[22:23]
	v_add_f64 v[227:228], v[229:230], v[227:228]
	v_fma_f64 v[243:244], v[173:174], s[34:35], v[241:242]
	v_mov_b32_e32 v137, v190
	v_fma_f64 v[189:190], v[161:162], s[8:9], -v[235:236]
	v_add_f64 v[237:238], v[237:238], v[250:251]
	v_fma_f64 v[144:145], v[163:164], s[8:9], -v[144:145]
	v_add_f64 v[213:214], v[219:220], v[213:214]
	v_fma_f64 v[219:220], v[161:162], s[8:9], v[235:236]
	v_add_f64 v[227:228], v[239:240], v[227:228]
	v_add_f64 v[146:147], v[248:249], v[146:147]
	v_fma_f64 v[140:141], v[179:180], s[28:29], -v[140:141]
	v_mul_f64 v[229:230], v[185:186], s[36:37]
	v_fma_f64 v[250:251], v[167:168], s[16:17], -v[231:232]
	v_add_f64 v[189:190], v[189:190], v[237:238]
	v_fma_f64 v[239:240], v[179:180], s[18:19], v[254:255]
	v_add_f64 v[213:214], v[144:145], v[213:214]
	v_add_f64 v[227:228], v[243:244], v[227:228]
	v_fma_f64 v[243:244], v[169:170], s[16:17], -v[252:253]
	v_fma_f64 v[231:232], v[167:168], s[16:17], v[231:232]
	v_add_f64 v[219:220], v[219:220], v[146:147]
	v_mul_f64 v[237:238], v[195:196], s[22:23]
	v_fma_f64 v[235:236], v[171:172], s[34:35], -v[229:230]
	v_add_f64 v[189:190], v[250:251], v[189:190]
	v_add_f64 v[146:147], v[140:141], v[183:184]
	;; [unrolled: 1-line block ×3, first 2 shown]
	v_fma_f64 v[183:184], v[173:174], s[34:35], -v[241:242]
	v_add_f64 v[213:214], v[243:244], v[213:214]
	v_fma_f64 v[221:222], v[171:172], s[34:35], v[229:230]
	v_add_f64 v[219:220], v[231:232], v[219:220]
	v_add_f64 v[142:143], v[239:240], v[227:228]
	v_mul_f64 v[227:228], v[191:192], s[22:23]
	v_fma_f64 v[248:249], v[177:178], s[18:19], -v[237:238]
	v_add_f64 v[189:190], v[235:236], v[189:190]
	v_mul_f64 v[231:232], v[199:200], s[40:41]
	v_add_f64 v[183:184], v[183:184], v[213:214]
	v_fma_f64 v[213:214], v[177:178], s[18:19], v[237:238]
	v_add_f64 v[219:220], v[221:222], v[219:220]
	v_mul_f64 v[221:222], v[153:154], s[22:23]
	v_fma_f64 v[237:238], v[151:152], s[18:19], v[227:228]
	v_mul_f64 v[241:242], v[181:182], s[36:37]
	v_add_f64 v[140:141], v[248:249], v[189:190]
	v_mul_f64 v[243:244], v[159:160], s[40:41]
	v_fma_f64 v[250:251], v[157:158], s[24:25], v[231:232]
	v_fma_f64 v[227:228], v[151:152], s[18:19], -v[227:228]
	s_mov_b32 s31, 0xbfefc445
	v_fma_f64 v[248:249], v[149:150], s[18:19], -v[221:222]
	v_add_f64 v[237:238], v[90:91], v[237:238]
	v_mov_b32_e32 v138, v197
	v_fma_f64 v[189:190], v[179:180], s[18:19], -v[254:255]
	v_mul_f64 v[252:253], v[187:188], s[30:31]
	v_fma_f64 v[254:255], v[163:164], s[34:35], v[241:242]
	v_mov_b32_e32 v139, v198
	v_mul_f64 v[197:198], v[165:166], s[36:37]
	v_fma_f64 v[203:204], v[155:156], s[24:25], -v[243:244]
	v_add_f64 v[248:249], v[88:89], v[248:249]
	v_fma_f64 v[231:232], v[157:158], s[24:25], -v[231:232]
	v_add_f64 v[227:228], v[90:91], v[227:228]
	v_add_f64 v[237:238], v[250:251], v[237:238]
	v_fma_f64 v[221:222], v[149:150], s[18:19], v[221:222]
	v_mul_f64 v[229:230], v[193:194], s[44:45]
	v_fma_f64 v[250:251], v[169:170], s[28:29], v[252:253]
	v_fma_f64 v[207:208], v[161:162], s[34:35], -v[197:198]
	v_add_f64 v[203:204], v[203:204], v[248:249]
	v_fma_f64 v[241:242], v[163:164], s[34:35], -v[241:242]
	v_add_f64 v[227:228], v[231:232], v[227:228]
	v_add_f64 v[231:232], v[254:255], v[237:238]
	v_fma_f64 v[237:238], v[155:156], s[24:25], v[243:244]
	v_add_f64 v[221:222], v[88:89], v[221:222]
	v_mul_f64 v[235:236], v[201:202], s[42:43]
	v_fma_f64 v[239:240], v[173:174], s[16:17], v[229:230]
	v_mul_f64 v[215:216], v[175:176], s[30:31]
	v_add_f64 v[203:204], v[207:208], v[203:204]
	v_fma_f64 v[207:208], v[169:170], s[28:29], -v[252:253]
	v_add_f64 v[227:228], v[241:242], v[227:228]
	v_add_f64 v[231:232], v[250:251], v[231:232]
	v_fma_f64 v[197:198], v[161:162], s[34:35], v[197:198]
	v_add_f64 v[221:222], v[237:238], v[221:222]
	v_mul_f64 v[243:244], v[185:186], s[44:45]
	v_fma_f64 v[248:249], v[167:168], s[28:29], -v[215:216]
	v_mul_f64 v[237:238], v[195:196], s[42:43]
	v_fma_f64 v[215:216], v[167:168], s[28:29], v[215:216]
	v_add_f64 v[207:208], v[207:208], v[227:228]
	v_fma_f64 v[227:228], v[179:180], s[8:9], v[235:236]
	v_add_f64 v[250:251], v[189:190], v[183:184]
	v_add_f64 v[197:198], v[197:198], v[221:222]
	;; [unrolled: 1-line block ×3, first 2 shown]
	v_fma_f64 v[241:242], v[171:172], s[16:17], -v[243:244]
	v_add_f64 v[203:204], v[248:249], v[203:204]
	v_fma_f64 v[231:232], v[177:178], s[8:9], -v[237:238]
	v_fma_f64 v[183:184], v[171:172], s[16:17], v[243:244]
	v_mul_f64 v[239:240], v[159:160], s[26:27]
	v_fma_f64 v[229:230], v[173:174], s[16:17], -v[229:230]
	v_add_f64 v[189:190], v[215:216], v[197:198]
	v_add_f64 v[254:255], v[227:228], v[221:222]
	v_mul_f64 v[227:228], v[153:154], s[30:31]
	v_add_f64 v[203:204], v[241:242], v[203:204]
	v_mul_f64 v[197:198], v[191:192], s[30:31]
	s_mov_b32 s41, 0x3fedeba7
	v_fma_f64 v[205:206], v[155:156], s[16:17], -v[239:240]
	s_mov_b32 s40, s22
	v_add_f64 v[183:184], v[183:184], v[189:190]
	v_mul_f64 v[189:190], v[199:200], s[26:27]
	v_fma_f64 v[241:242], v[149:150], s[28:29], -v[227:228]
	v_add_f64 v[252:253], v[231:232], v[203:204]
	v_fma_f64 v[203:204], v[177:178], s[8:9], v[237:238]
	v_fma_f64 v[215:216], v[151:152], s[28:29], v[197:198]
	v_fma_f64 v[197:198], v[151:152], s[28:29], -v[197:198]
	v_add_f64 v[207:208], v[229:230], v[207:208]
	v_add_f64 v[248:249], v[213:214], v[219:220]
	v_mul_f64 v[219:220], v[181:182], s[40:41]
	v_add_f64 v[241:242], v[88:89], v[241:242]
	v_fma_f64 v[229:230], v[157:158], s[16:17], v[189:190]
	v_fma_f64 v[189:190], v[157:158], s[16:17], -v[189:190]
	v_add_f64 v[215:216], v[90:91], v[215:216]
	v_add_f64 v[197:198], v[90:91], v[197:198]
	v_mul_f64 v[231:232], v[187:188], s[36:37]
	v_mul_f64 v[209:210], v[165:166], s[40:41]
	v_fma_f64 v[237:238], v[163:164], s[18:19], v[219:220]
	v_add_f64 v[205:206], v[205:206], v[241:242]
	v_add_f64 v[241:242], v[203:204], v[183:184]
	buffer_load_dword v203, off, s[52:55], 0 offset:144 ; 4-byte Folded Reload
	buffer_load_dword v204, off, s[52:55], 0 offset:148 ; 4-byte Folded Reload
	v_add_f64 v[215:216], v[229:230], v[215:216]
	v_fma_f64 v[227:228], v[149:150], s[28:29], v[227:228]
	v_fma_f64 v[219:220], v[163:164], s[18:19], -v[219:220]
	v_add_f64 v[189:190], v[189:190], v[197:198]
	v_fma_f64 v[235:236], v[179:180], s[8:9], -v[235:236]
	v_mul_f64 v[213:214], v[193:194], s[10:11]
	v_fma_f64 v[229:230], v[169:170], s[34:35], v[231:232]
	v_fma_f64 v[231:232], v[169:170], s[34:35], -v[231:232]
	v_add_f64 v[197:198], v[237:238], v[215:216]
	v_mul_f64 v[215:216], v[175:176], s[36:37]
	v_fma_f64 v[237:238], v[155:156], s[16:17], v[239:240]
	v_add_f64 v[227:228], v[88:89], v[227:228]
	v_fma_f64 v[239:240], v[161:162], s[18:19], -v[209:210]
	v_add_f64 v[189:190], v[219:220], v[189:190]
	v_add_f64 v[243:244], v[235:236], v[207:208]
	v_mul_f64 v[207:208], v[201:202], s[38:39]
	v_fma_f64 v[235:236], v[173:174], s[8:9], v[213:214]
	v_add_f64 v[197:198], v[229:230], v[197:198]
	v_mul_f64 v[219:220], v[185:186], s[10:11]
	v_fma_f64 v[209:210], v[161:162], s[18:19], v[209:210]
	v_add_f64 v[227:228], v[237:238], v[227:228]
	v_fma_f64 v[229:230], v[167:168], s[34:35], -v[215:216]
	v_add_f64 v[205:206], v[239:240], v[205:206]
	v_fma_f64 v[213:214], v[173:174], s[8:9], -v[213:214]
	v_add_f64 v[189:190], v[231:232], v[189:190]
	v_fma_f64 v[221:222], v[179:180], s[24:25], v[207:208]
	v_fma_f64 v[215:216], v[167:168], s[34:35], v[215:216]
	v_fma_f64 v[207:208], v[179:180], s[24:25], -v[207:208]
	v_add_f64 v[209:210], v[209:210], v[227:228]
	v_fma_f64 v[227:228], v[171:172], s[8:9], -v[219:220]
	v_add_f64 v[205:206], v[229:230], v[205:206]
	v_fma_f64 v[183:184], v[171:172], s[8:9], v[219:220]
	v_add_f64 v[189:190], v[213:214], v[189:190]
	v_add_f64 v[197:198], v[235:236], v[197:198]
	s_mov_b32 s37, 0xbfddbe06
	v_mul_f64 v[191:192], v[191:192], s[36:37]
	v_add_f64 v[213:214], v[215:216], v[209:210]
	v_mul_f64 v[108:109], v[153:154], s[36:37]
	v_add_f64 v[215:216], v[227:228], v[205:206]
	;; [unrolled: 2-line block ×3, first 2 shown]
	v_add_f64 v[209:210], v[221:222], v[197:198]
	v_mul_f64 v[159:160], v[159:160], s[10:11]
	v_mul_f64 v[181:182], v[181:182], s[30:31]
	v_add_f64 v[183:184], v[183:184], v[213:214]
	v_fma_f64 v[112:113], v[149:150], s[34:35], v[108:109]
	v_fma_f64 v[108:109], v[149:150], s[34:35], -v[108:109]
	v_mul_f64 v[114:115], v[165:166], s[30:31]
	v_fma_f64 v[149:150], v[157:158], s[8:9], -v[199:200]
	v_mul_f64 v[187:188], v[187:188], s[22:23]
	;; [unrolled: 2-line block ×3, first 2 shown]
	v_mul_f64 v[153:154], v[185:186], s[38:39]
	v_add_f64 v[112:113], v[88:89], v[112:113]
	v_add_f64 v[94:95], v[94:95], v[126:127]
	v_fma_f64 v[118:119], v[161:162], s[28:29], v[114:115]
	v_fma_f64 v[114:115], v[161:162], s[28:29], -v[114:115]
	v_add_f64 v[104:105], v[104:105], v[124:125]
	v_mul_f64 v[231:232], v[195:196], s[38:39]
	v_add_f64 v[94:95], v[94:95], v[130:131]
	v_add_f64 v[104:105], v[104:105], v[128:129]
	v_fma_f64 v[189:190], v[177:178], s[24:25], v[231:232]
	v_fma_f64 v[197:198], v[177:178], s[24:25], -v[231:232]
	v_add_f64 v[94:95], v[94:95], v[134:135]
	v_add_f64 v[104:105], v[104:105], v[132:133]
	;; [unrolled: 1-line block ×3, first 2 shown]
	s_waitcnt vmcnt(0)
	v_add_f64 v[203:204], v[138:139], -v[203:204]
	buffer_load_dword v138, off, s[52:55], 0 offset:136 ; 4-byte Folded Reload
	buffer_load_dword v139, off, s[52:55], 0 offset:140 ; 4-byte Folded Reload
	v_add_f64 v[0:1], v[104:105], v[0:1]
	v_add_f64 v[203:204], v[90:91], v[203:204]
	s_waitcnt vmcnt(0)
	v_add_f64 v[207:208], v[217:218], -v[138:139]
	buffer_load_dword v138, off, s[52:55], 0 offset:120 ; 4-byte Folded Reload
	buffer_load_dword v139, off, s[52:55], 0 offset:124 ; 4-byte Folded Reload
	v_add_f64 v[203:204], v[207:208], v[203:204]
	s_waitcnt vmcnt(0)
	v_add_f64 v[213:214], v[138:139], v[136:137]
	buffer_load_dword v136, off, s[52:55], 0 offset:160 ; 4-byte Folded Reload
	buffer_load_dword v137, off, s[52:55], 0 offset:164 ; 4-byte Folded Reload
	v_add_f64 v[213:214], v[88:89], v[213:214]
	v_add_f64 v[88:89], v[88:89], v[108:109]
	v_fma_f64 v[108:109], v[163:164], s[28:29], -v[181:182]
	v_add_f64 v[88:89], v[116:117], v[88:89]
	v_fma_f64 v[116:117], v[169:170], s[18:19], -v[187:188]
	v_add_f64 v[88:89], v[114:115], v[88:89]
	v_fma_f64 v[114:115], v[171:172], s[24:25], v[153:154]
	s_waitcnt vmcnt(0)
	v_add_f64 v[217:218], v[233:234], -v[136:137]
	buffer_load_dword v136, off, s[52:55], 0 offset:128 ; 4-byte Folded Reload
	buffer_load_dword v137, off, s[52:55], 0 offset:132 ; 4-byte Folded Reload
	s_waitcnt vmcnt(0)
	v_add_f64 v[219:220], v[225:226], -v[136:137]
	buffer_load_dword v136, off, s[52:55], 0 offset:112 ; 4-byte Folded Reload
	buffer_load_dword v137, off, s[52:55], 0 offset:116 ; 4-byte Folded Reload
	;; [unrolled: 4-line block ×3, first 2 shown]
	buffer_load_dword v138, off, s[52:55], 0 offset:152 ; 4-byte Folded Reload
	buffer_load_dword v139, off, s[52:55], 0 offset:156 ; 4-byte Folded Reload
	v_add_f64 v[203:204], v[211:212], v[203:204]
	s_waitcnt vmcnt(0)
	v_add_f64 v[207:208], v[136:137], v[138:139]
	buffer_load_dword v136, off, s[52:55], 0 offset:104 ; 4-byte Folded Reload
	buffer_load_dword v137, off, s[52:55], 0 offset:108 ; 4-byte Folded Reload
	v_add_f64 v[207:208], v[207:208], v[213:214]
	v_fma_f64 v[213:214], v[157:158], s[8:9], v[199:200]
	s_waitcnt vmcnt(0)
	v_add_f64 v[221:222], v[223:224], -v[136:137]
	buffer_load_dword v136, off, s[52:55], 0 offset:32 ; 4-byte Folded Reload
	buffer_load_dword v137, off, s[52:55], 0 offset:36 ; 4-byte Folded Reload
	;; [unrolled: 1-line block ×4, first 2 shown]
	v_fma_f64 v[223:224], v[151:152], s[34:35], v[191:192]
	v_fma_f64 v[151:152], v[151:152], s[34:35], -v[191:192]
	v_add_f64 v[100:101], v[221:222], v[203:204]
	v_add_f64 v[223:224], v[90:91], v[223:224]
	v_add_f64 v[90:91], v[90:91], v[151:152]
	v_fma_f64 v[151:152], v[155:156], s[8:9], v[159:160]
	v_add_f64 v[96:97], v[219:220], v[100:101]
	v_add_f64 v[90:91], v[149:150], v[90:91]
	;; [unrolled: 1-line block ×5, first 2 shown]
	v_fma_f64 v[108:109], v[167:168], s[18:19], v[175:176]
	v_add_f64 v[112:113], v[118:119], v[112:113]
	v_fma_f64 v[118:119], v[167:168], s[18:19], -v[175:176]
	v_add_f64 v[90:91], v[116:117], v[90:91]
	v_add_f64 v[108:109], v[108:109], v[112:113]
	v_fma_f64 v[112:113], v[171:172], s[24:25], -v[153:154]
	v_add_f64 v[88:89], v[118:119], v[88:89]
	v_add_f64 v[108:109], v[114:115], v[108:109]
	;; [unrolled: 1-line block ×3, first 2 shown]
	s_waitcnt vmcnt(0)
	v_add_f64 v[211:212], v[136:137], v[138:139]
	buffer_load_dword v102, off, s[52:55], 0 offset:24 ; 4-byte Folded Reload
	buffer_load_dword v103, off, s[52:55], 0 offset:28 ; 4-byte Folded Reload
	;; [unrolled: 1-line block ×5, first 2 shown]
	buffer_load_dword v219, off, s[52:55], 0 ; 4-byte Folded Reload
	buffer_load_dword v98, off, s[52:55], 0 offset:16 ; 4-byte Folded Reload
	buffer_load_dword v99, off, s[52:55], 0 offset:20 ; 4-byte Folded Reload
	;; [unrolled: 1-line block ×8, first 2 shown]
	v_add_f64 v[203:204], v[211:212], v[207:208]
	v_fma_f64 v[207:208], v[163:164], s[28:29], v[181:182]
	v_add_f64 v[211:212], v[213:214], v[223:224]
	s_waitcnt vmcnt(10)
	v_add_f64 v[102:103], v[102:103], v[136:137]
	s_waitcnt vmcnt(4)
	;; [unrolled: 2-line block ×3, first 2 shown]
	v_add_f64 v[106:107], v[96:97], v[106:107]
	v_mul_f64 v[96:97], v[201:202], s[26:27]
	v_add_f64 v[100:101], v[102:103], v[203:204]
	v_mul_f64 v[102:103], v[193:194], s[38:39]
	v_fma_f64 v[193:194], v[169:170], s[18:19], v[187:188]
	v_fma_f64 v[116:117], v[179:180], s[16:17], -v[96:97]
	v_fma_f64 v[114:115], v[179:180], s[16:17], v[96:97]
	v_add_f64 v[203:204], v[207:208], v[211:212]
	v_add_f64 v[207:208], v[197:198], v[215:216]
	;; [unrolled: 1-line block ×3, first 2 shown]
	v_fma_f64 v[100:101], v[173:174], s[24:25], v[102:103]
	v_fma_f64 v[102:103], v[173:174], s[24:25], -v[102:103]
	v_add_f64 v[193:194], v[193:194], v[203:204]
	v_add_f64 v[203:204], v[189:190], v[183:184]
	;; [unrolled: 1-line block ×3, first 2 shown]
	v_fma_f64 v[102:103], v[177:178], s[16:17], v[110:111]
	v_fma_f64 v[110:111], v[177:178], s[16:17], -v[110:111]
	v_add_f64 v[100:101], v[100:101], v[193:194]
	v_add_f64 v[96:97], v[116:117], v[90:91]
	v_add_f64 v[90:91], v[106:107], v[98:99]
	v_add_f64 v[98:99], v[110:111], v[88:89]
	buffer_load_dword v88, off, s[52:55], 0 offset:8 ; 4-byte Folded Reload
	buffer_load_dword v89, off, s[52:55], 0 offset:12 ; 4-byte Folded Reload
	v_add_f64 v[94:95], v[102:103], v[108:109]
	v_add_f64 v[100:101], v[114:115], v[100:101]
	s_waitcnt vmcnt(0)
	v_lshl_add_u32 v88, v89, 4, v88
	ds_write_b128 v88, v[0:3]
	ds_write_b128 v88, v[94:97] offset:16
	ds_write_b128 v88, v[90:93] offset:32
	;; [unrolled: 1-line block ×6, first 2 shown]
	buffer_load_dword v0, off, s[52:55], 0 offset:48 ; 4-byte Folded Reload
	buffer_load_dword v1, off, s[52:55], 0 offset:52 ; 4-byte Folded Reload
	;; [unrolled: 1-line block ×4, first 2 shown]
	s_waitcnt vmcnt(0)
	ds_write_b128 v88, v[0:3] offset:112
	ds_write_b128 v88, v[140:143] offset:128
	;; [unrolled: 1-line block ×6, first 2 shown]
.LBB0_17:
	s_or_b64 exec, exec, s[20:21]
	s_waitcnt lgkmcnt(0)
	s_barrier
	ds_read_b128 v[0:3], v245 offset:1248
	ds_read_b128 v[92:95], v245 offset:3744
	;; [unrolled: 1-line block ×3, first 2 shown]
	s_mov_b32 s18, 0xf8bb580b
	s_mov_b32 s8, 0x8eee2c13
	s_waitcnt lgkmcnt(2)
	v_mul_f64 v[96:97], v[54:55], v[2:3]
	v_mul_f64 v[54:55], v[54:55], v[0:1]
	s_waitcnt lgkmcnt(1)
	v_mul_f64 v[102:103], v[18:19], v[94:95]
	v_mul_f64 v[18:19], v[18:19], v[92:93]
	s_mov_b32 s22, 0x43842ef
	s_mov_b32 s30, 0xbb3a28a1
	;; [unrolled: 1-line block ×4, first 2 shown]
	v_fma_f64 v[96:97], v[52:53], v[0:1], v[96:97]
	v_fma_f64 v[100:101], v[52:53], v[2:3], -v[54:55]
	ds_read_b128 v[52:55], v245
	s_waitcnt lgkmcnt(1)
	v_mul_f64 v[98:99], v[46:47], v[90:91]
	v_mul_f64 v[46:47], v[46:47], v[88:89]
	ds_read_b128 v[0:3], v245 offset:4992
	v_fma_f64 v[102:103], v[16:17], v[92:93], v[102:103]
	v_fma_f64 v[108:109], v[16:17], v[94:95], -v[18:19]
	s_mov_b32 s9, 0xbfed1bb4
	s_mov_b32 s23, 0xbfefac9e
	;; [unrolled: 1-line block ×3, first 2 shown]
	v_fma_f64 v[98:99], v[44:45], v[88:89], v[98:99]
	v_fma_f64 v[104:105], v[44:45], v[90:91], -v[46:47]
	ds_read_b128 v[44:47], v245 offset:6240
	s_waitcnt lgkmcnt(2)
	v_add_f64 v[88:89], v[52:53], v[96:97]
	v_add_f64 v[90:91], v[54:55], v[100:101]
	s_waitcnt lgkmcnt(1)
	v_mul_f64 v[106:107], v[10:11], v[2:3]
	v_mul_f64 v[10:11], v[10:11], v[0:1]
	s_waitcnt lgkmcnt(0)
	v_mul_f64 v[110:111], v[50:51], v[46:47]
	v_mul_f64 v[50:51], v[50:51], v[44:45]
	s_mov_b32 s39, 0xbfd207e7
	s_mov_b32 s10, 0x8764f0ba
	v_add_f64 v[92:93], v[88:89], v[98:99]
	v_add_f64 v[94:95], v[90:91], v[104:105]
	v_fma_f64 v[106:107], v[8:9], v[0:1], v[106:107]
	v_fma_f64 v[112:113], v[8:9], v[2:3], -v[10:11]
	ds_read_b128 v[16:19], v245 offset:7488
	ds_read_b128 v[88:91], v245 offset:8736
	v_fma_f64 v[44:45], v[48:49], v[44:45], v[110:111]
	v_fma_f64 v[46:47], v[48:49], v[46:47], -v[50:51]
	s_mov_b32 s16, 0xd9c712b6
	v_add_f64 v[114:115], v[92:93], v[102:103]
	v_add_f64 v[116:117], v[94:95], v[108:109]
	s_waitcnt lgkmcnt(1)
	v_mul_f64 v[118:119], v[22:23], v[18:19]
	v_mul_f64 v[22:23], v[22:23], v[16:17]
	ds_read_b128 v[0:3], v245 offset:9984
	ds_read_b128 v[8:11], v245 offset:11232
	;; [unrolled: 1-line block ×3, first 2 shown]
	s_waitcnt lgkmcnt(3)
	v_mul_f64 v[110:111], v[14:15], v[90:91]
	v_mul_f64 v[14:15], v[14:15], v[88:89]
	s_mov_b32 s26, 0x640f44db
	v_add_f64 v[48:49], v[114:115], v[106:107]
	v_add_f64 v[50:51], v[116:117], v[112:113]
	v_fma_f64 v[16:17], v[20:21], v[16:17], v[118:119]
	v_fma_f64 v[18:19], v[20:21], v[18:19], -v[22:23]
	s_mov_b32 s34, 0x7f775887
	v_fma_f64 v[88:89], v[12:13], v[88:89], v[110:111]
	v_fma_f64 v[12:13], v[12:13], v[90:91], -v[14:15]
	s_mov_b32 s40, 0x9bcd5057
	v_add_f64 v[20:21], v[48:49], v[44:45]
	v_add_f64 v[22:23], v[50:51], v[46:47]
	s_waitcnt lgkmcnt(0)
	v_mul_f64 v[48:49], v[42:43], v[92:93]
	v_mul_f64 v[50:51], v[6:7], v[2:3]
	;; [unrolled: 1-line block ×3, first 2 shown]
	s_mov_b32 s11, 0x3feaeb8c
	s_mov_b32 s17, 0x3fda9628
	;; [unrolled: 1-line block ×3, first 2 shown]
	v_add_f64 v[14:15], v[20:21], v[16:17]
	v_add_f64 v[20:21], v[22:23], v[18:19]
	v_mul_f64 v[22:23], v[42:43], v[94:95]
	v_fma_f64 v[42:43], v[40:41], v[94:95], -v[48:49]
	v_mul_f64 v[48:49], v[26:27], v[10:11]
	v_mul_f64 v[26:27], v[26:27], v[8:9]
	v_fma_f64 v[50:51], v[4:5], v[0:1], v[50:51]
	v_fma_f64 v[4:5], v[4:5], v[2:3], -v[6:7]
	v_add_f64 v[0:1], v[14:15], v[88:89]
	v_add_f64 v[2:3], v[20:21], v[12:13]
	v_fma_f64 v[6:7], v[40:41], v[92:93], v[22:23]
	v_add_f64 v[14:15], v[100:101], -v[42:43]
	v_fma_f64 v[8:9], v[24:25], v[8:9], v[48:49]
	v_fma_f64 v[10:11], v[24:25], v[10:11], -v[26:27]
	v_add_f64 v[20:21], v[100:101], v[42:43]
	s_mov_b32 s35, 0xbfe4f49e
	v_add_f64 v[0:1], v[0:1], v[50:51]
	v_add_f64 v[2:3], v[2:3], v[4:5]
	;; [unrolled: 1-line block ×3, first 2 shown]
	v_mul_f64 v[24:25], v[14:15], s[18:19]
	v_add_f64 v[26:27], v[96:97], -v[6:7]
	v_mul_f64 v[90:91], v[14:15], s[8:9]
	v_mul_f64 v[96:97], v[14:15], s[22:23]
	;; [unrolled: 1-line block ×4, first 2 shown]
	v_add_f64 v[124:125], v[104:105], -v[10:11]
	s_mov_b32 s41, 0xbfeeb42a
	v_mul_f64 v[40:41], v[20:21], s[10:11]
	v_add_f64 v[0:1], v[0:1], v[8:9]
	v_add_f64 v[2:3], v[2:3], v[10:11]
	v_fma_f64 v[48:49], v[22:23], s[10:11], v[24:25]
	v_mul_f64 v[92:93], v[20:21], s[16:17]
	v_mul_f64 v[110:111], v[20:21], s[26:27]
	v_mul_f64 v[116:117], v[20:21], s[34:35]
	v_mul_f64 v[20:21], v[20:21], s[40:41]
	v_add_f64 v[10:11], v[104:105], v[10:11]
	v_fma_f64 v[104:105], v[22:23], s[40:41], v[14:15]
	v_add_f64 v[128:129], v[98:99], v[8:9]
	v_add_f64 v[8:9], v[98:99], -v[8:9]
	v_mul_f64 v[98:99], v[124:125], s[8:9]
	s_mov_b32 s25, 0x3fe14ced
	s_mov_b32 s24, s18
	s_mov_b32 s21, 0x3fed1bb4
	s_mov_b32 s20, s8
	s_mov_b32 s29, 0x3fefac9e
	s_mov_b32 s28, s22
	s_mov_b32 s37, 0x3fe82f19
	s_mov_b32 s36, s30
	s_mov_b32 s43, 0x3fd207e7
	s_mov_b32 s42, s38
	v_fma_f64 v[94:95], v[26:27], s[24:25], v[40:41]
	v_add_f64 v[0:1], v[0:1], v[6:7]
	v_add_f64 v[2:3], v[2:3], v[42:43]
	v_fma_f64 v[6:7], v[22:23], s[10:11], -v[24:25]
	v_add_f64 v[24:25], v[52:53], v[48:49]
	v_fma_f64 v[40:41], v[26:27], s[18:19], v[40:41]
	v_fma_f64 v[42:43], v[22:23], s[16:17], v[90:91]
	v_fma_f64 v[48:49], v[26:27], s[20:21], v[92:93]
	v_fma_f64 v[90:91], v[22:23], s[16:17], -v[90:91]
	v_fma_f64 v[92:93], v[26:27], s[8:9], v[92:93]
	v_fma_f64 v[100:101], v[22:23], s[26:27], v[96:97]
	v_fma_f64 v[118:119], v[26:27], s[28:29], v[110:111]
	v_fma_f64 v[96:97], v[22:23], s[26:27], -v[96:97]
	;; [unrolled: 4-line block ×3, first 2 shown]
	v_fma_f64 v[116:117], v[26:27], s[30:31], v[116:117]
	v_fma_f64 v[126:127], v[26:27], s[42:43], v[20:21]
	v_mul_f64 v[130:131], v[10:11], s[16:17]
	v_fma_f64 v[14:15], v[22:23], s[40:41], -v[14:15]
	v_fma_f64 v[20:21], v[26:27], s[38:39], v[20:21]
	v_add_f64 v[22:23], v[52:53], v[104:105]
	v_mul_f64 v[104:105], v[124:125], s[30:31]
	v_fma_f64 v[132:133], v[128:129], s[16:17], v[98:99]
	v_add_f64 v[94:95], v[54:55], v[94:95]
	v_add_f64 v[6:7], v[52:53], v[6:7]
	;; [unrolled: 1-line block ×16, first 2 shown]
	v_mul_f64 v[126:127], v[10:11], s[34:35]
	v_fma_f64 v[134:135], v[8:9], s[20:21], v[130:131]
	v_add_f64 v[14:15], v[52:53], v[14:15]
	v_add_f64 v[20:21], v[54:55], v[20:21]
	v_fma_f64 v[52:53], v[128:129], s[16:17], -v[98:99]
	v_fma_f64 v[54:55], v[8:9], s[8:9], v[130:131]
	v_fma_f64 v[98:99], v[128:129], s[34:35], v[104:105]
	v_add_f64 v[24:25], v[132:133], v[24:25]
	v_mul_f64 v[132:133], v[124:125], s[42:43]
	v_fma_f64 v[130:131], v[8:9], s[36:37], v[126:127]
	v_add_f64 v[94:95], v[134:135], v[94:95]
	v_mul_f64 v[134:135], v[10:11], s[40:41]
	v_add_f64 v[6:7], v[52:53], v[6:7]
	v_add_f64 v[40:41], v[54:55], v[40:41]
	v_add_f64 v[42:43], v[98:99], v[42:43]
	v_fma_f64 v[52:53], v[128:129], s[34:35], -v[104:105]
	v_fma_f64 v[54:55], v[8:9], s[30:31], v[126:127]
	v_fma_f64 v[98:99], v[128:129], s[40:41], v[132:133]
	v_mul_f64 v[126:127], v[124:125], s[28:29]
	v_add_f64 v[48:49], v[130:131], v[48:49]
	v_fma_f64 v[104:105], v[8:9], s[38:39], v[134:135]
	v_mul_f64 v[130:131], v[10:11], s[26:27]
	v_fma_f64 v[134:135], v[8:9], s[42:43], v[134:135]
	v_add_f64 v[52:53], v[52:53], v[90:91]
	v_add_f64 v[54:55], v[54:55], v[92:93]
	v_add_f64 v[90:91], v[98:99], v[100:101]
	v_fma_f64 v[98:99], v[128:129], s[26:27], v[126:127]
	v_mul_f64 v[124:125], v[124:125], s[24:25]
	v_add_f64 v[92:93], v[104:105], v[118:119]
	v_fma_f64 v[118:119], v[8:9], s[28:29], v[130:131]
	v_add_f64 v[104:105], v[134:135], v[110:111]
	v_fma_f64 v[110:111], v[128:129], s[26:27], -v[126:127]
	v_mul_f64 v[10:11], v[10:11], s[10:11]
	v_fma_f64 v[100:101], v[8:9], s[22:23], v[130:131]
	v_add_f64 v[98:99], v[98:99], v[120:121]
	v_add_f64 v[120:121], v[108:109], -v[4:5]
	v_add_f64 v[4:5], v[108:109], v[4:5]
	v_fma_f64 v[132:133], v[128:129], s[40:41], -v[132:133]
	v_add_f64 v[108:109], v[110:111], v[114:115]
	v_add_f64 v[110:111], v[118:119], v[116:117]
	v_fma_f64 v[114:115], v[128:129], s[10:11], v[124:125]
	v_fma_f64 v[116:117], v[8:9], s[18:19], v[10:11]
	v_add_f64 v[118:119], v[102:103], v[50:51]
	v_add_f64 v[50:51], v[102:103], -v[50:51]
	v_mul_f64 v[102:103], v[120:121], s[22:23]
	v_add_f64 v[100:101], v[100:101], v[122:123]
	v_mul_f64 v[122:123], v[4:5], s[26:27]
	v_fma_f64 v[8:9], v[8:9], s[24:25], v[10:11]
	v_add_f64 v[10:11], v[114:115], v[22:23]
	v_add_f64 v[22:23], v[116:117], v[26:27]
	v_mul_f64 v[26:27], v[120:121], s[42:43]
	v_fma_f64 v[124:125], v[128:129], s[10:11], -v[124:125]
	v_fma_f64 v[116:117], v[118:119], s[26:27], v[102:103]
	v_mul_f64 v[114:115], v[4:5], s[40:41]
	v_fma_f64 v[126:127], v[50:51], s[28:29], v[122:123]
	v_add_f64 v[8:9], v[8:9], v[20:21]
	v_fma_f64 v[20:21], v[118:119], s[26:27], -v[102:103]
	v_fma_f64 v[102:103], v[50:51], s[22:23], v[122:123]
	v_fma_f64 v[122:123], v[118:119], s[40:41], v[26:27]
	v_add_f64 v[14:15], v[124:125], v[14:15]
	v_add_f64 v[24:25], v[116:117], v[24:25]
	v_mul_f64 v[116:117], v[120:121], s[20:21]
	v_fma_f64 v[124:125], v[50:51], s[38:39], v[114:115]
	v_add_f64 v[94:95], v[126:127], v[94:95]
	v_mul_f64 v[126:127], v[4:5], s[16:17]
	v_add_f64 v[6:7], v[20:21], v[6:7]
	v_add_f64 v[20:21], v[102:103], v[40:41]
	;; [unrolled: 1-line block ×3, first 2 shown]
	v_fma_f64 v[26:27], v[118:119], s[40:41], -v[26:27]
	v_fma_f64 v[102:103], v[118:119], s[16:17], v[116:117]
	v_mul_f64 v[122:123], v[120:121], s[18:19]
	v_add_f64 v[42:43], v[124:125], v[48:49]
	v_fma_f64 v[48:49], v[50:51], s[42:43], v[114:115]
	v_fma_f64 v[114:115], v[50:51], s[8:9], v[126:127]
	v_mul_f64 v[124:125], v[4:5], s[10:11]
	v_fma_f64 v[126:127], v[50:51], s[20:21], v[126:127]
	v_add_f64 v[26:27], v[26:27], v[52:53]
	v_add_f64 v[52:53], v[102:103], v[90:91]
	v_fma_f64 v[90:91], v[118:119], s[10:11], v[122:123]
	v_add_f64 v[96:97], v[132:133], v[96:97]
	v_add_f64 v[48:49], v[48:49], v[54:55]
	;; [unrolled: 1-line block ×3, first 2 shown]
	v_fma_f64 v[92:93], v[50:51], s[24:25], v[124:125]
	v_add_f64 v[102:103], v[126:127], v[104:105]
	v_mul_f64 v[104:105], v[120:121], s[30:31]
	v_fma_f64 v[116:117], v[118:119], s[16:17], -v[116:117]
	v_mul_f64 v[4:5], v[4:5], s[34:35]
	v_fma_f64 v[114:115], v[118:119], s[10:11], -v[122:123]
	v_add_f64 v[90:91], v[90:91], v[98:99]
	v_add_f64 v[98:99], v[112:113], -v[12:13]
	v_add_f64 v[92:93], v[92:93], v[100:101]
	v_add_f64 v[12:13], v[112:113], v[12:13]
	v_fma_f64 v[100:101], v[118:119], s[34:35], v[104:105]
	v_add_f64 v[96:97], v[116:117], v[96:97]
	v_fma_f64 v[116:117], v[50:51], s[18:19], v[124:125]
	v_fma_f64 v[112:113], v[50:51], s[36:37], v[4:5]
	v_add_f64 v[108:109], v[114:115], v[108:109]
	v_add_f64 v[114:115], v[106:107], v[88:89]
	v_add_f64 v[88:89], v[106:107], -v[88:89]
	v_mul_f64 v[106:107], v[98:99], s[30:31]
	v_add_f64 v[10:11], v[100:101], v[10:11]
	v_fma_f64 v[100:101], v[118:119], s[34:35], -v[104:105]
	v_mul_f64 v[104:105], v[12:13], s[26:27]
	v_add_f64 v[110:111], v[116:117], v[110:111]
	v_mul_f64 v[116:117], v[12:13], s[34:35]
	v_add_f64 v[22:23], v[112:113], v[22:23]
	v_fma_f64 v[4:5], v[50:51], s[30:31], v[4:5]
	v_mul_f64 v[50:51], v[98:99], s[28:29]
	v_fma_f64 v[112:113], v[114:115], s[34:35], v[106:107]
	v_fma_f64 v[106:107], v[114:115], s[34:35], -v[106:107]
	v_add_f64 v[14:15], v[100:101], v[14:15]
	v_fma_f64 v[100:101], v[88:89], s[22:23], v[104:105]
	v_fma_f64 v[104:105], v[88:89], s[28:29], v[104:105]
	;; [unrolled: 1-line block ×4, first 2 shown]
	v_add_f64 v[4:5], v[4:5], v[8:9]
	v_fma_f64 v[8:9], v[114:115], s[26:27], v[50:51]
	v_add_f64 v[24:25], v[112:113], v[24:25]
	v_add_f64 v[6:7], v[106:107], v[6:7]
	v_mul_f64 v[106:107], v[98:99], s[18:19]
	v_mul_f64 v[112:113], v[12:13], s[10:11]
	v_fma_f64 v[50:51], v[114:115], s[26:27], -v[50:51]
	v_add_f64 v[42:43], v[100:101], v[42:43]
	v_mul_f64 v[100:101], v[12:13], s[40:41]
	v_add_f64 v[48:49], v[104:105], v[48:49]
	v_add_f64 v[104:105], v[46:47], -v[18:19]
	v_add_f64 v[18:19], v[46:47], v[18:19]
	v_add_f64 v[94:95], v[118:119], v[94:95]
	;; [unrolled: 1-line block ×3, first 2 shown]
	v_fma_f64 v[116:117], v[114:115], s[10:11], v[106:107]
	v_fma_f64 v[118:119], v[88:89], s[24:25], v[112:113]
	v_fma_f64 v[106:107], v[114:115], s[10:11], -v[106:107]
	v_fma_f64 v[112:113], v[88:89], s[18:19], v[112:113]
	v_add_f64 v[50:51], v[50:51], v[26:27]
	v_mul_f64 v[26:27], v[98:99], s[20:21]
	v_mul_f64 v[12:13], v[12:13], s[16:17]
	v_add_f64 v[8:9], v[8:9], v[40:41]
	v_mul_f64 v[40:41], v[98:99], s[38:39]
	v_fma_f64 v[122:123], v[88:89], s[42:43], v[100:101]
	v_fma_f64 v[46:47], v[88:89], s[38:39], v[100:101]
	v_add_f64 v[98:99], v[44:45], v[16:17]
	v_add_f64 v[100:101], v[44:45], -v[16:17]
	v_mul_f64 v[44:45], v[18:19], s[40:41]
	v_add_f64 v[96:97], v[106:107], v[96:97]
	v_add_f64 v[102:103], v[112:113], v[102:103]
	v_fma_f64 v[106:107], v[114:115], s[16:17], v[26:27]
	v_fma_f64 v[112:113], v[88:89], s[8:9], v[12:13]
	v_mul_f64 v[16:17], v[104:105], s[38:39]
	v_add_f64 v[110:111], v[46:47], v[110:111]
	v_fma_f64 v[26:27], v[114:115], s[16:17], -v[26:27]
	v_fma_f64 v[12:13], v[88:89], s[20:21], v[12:13]
	v_fma_f64 v[46:47], v[100:101], s[42:43], v[44:45]
	;; [unrolled: 1-line block ×3, first 2 shown]
	v_fma_f64 v[40:41], v[114:115], s[40:41], -v[40:41]
	v_add_f64 v[88:89], v[106:107], v[10:11]
	v_add_f64 v[106:107], v[112:113], v[22:23]
	v_mul_f64 v[10:11], v[104:105], s[24:25]
	v_mul_f64 v[22:23], v[18:19], s[10:11]
	v_add_f64 v[112:113], v[26:27], v[14:15]
	v_add_f64 v[114:115], v[12:13], v[4:5]
	;; [unrolled: 1-line block ×3, first 2 shown]
	v_fma_f64 v[4:5], v[98:99], s[40:41], -v[16:17]
	v_mul_f64 v[46:47], v[104:105], s[30:31]
	v_mul_f64 v[94:95], v[18:19], s[34:35]
	v_add_f64 v[108:109], v[40:41], v[108:109]
	v_fma_f64 v[40:41], v[98:99], s[40:41], v[16:17]
	v_fma_f64 v[14:15], v[100:101], s[38:39], v[44:45]
	;; [unrolled: 1-line block ×4, first 2 shown]
	v_fma_f64 v[10:11], v[98:99], s[10:11], -v[10:11]
	v_fma_f64 v[22:23], v[100:101], s[24:25], v[22:23]
	v_add_f64 v[52:53], v[116:117], v[52:53]
	v_add_f64 v[54:55], v[118:119], v[54:55]
	;; [unrolled: 1-line block ×3, first 2 shown]
	v_fma_f64 v[4:5], v[98:99], s[34:35], v[46:47]
	v_fma_f64 v[6:7], v[100:101], s[36:37], v[94:95]
	v_add_f64 v[24:25], v[40:41], v[24:25]
	v_add_f64 v[14:15], v[14:15], v[20:21]
	;; [unrolled: 1-line block ×5, first 2 shown]
	v_fma_f64 v[20:21], v[100:101], s[30:31], v[94:95]
	v_mul_f64 v[22:23], v[104:105], s[20:21]
	v_mul_f64 v[48:49], v[18:19], s[16:17]
	v_add_f64 v[42:43], v[44:45], v[42:43]
	v_fma_f64 v[16:17], v[98:99], s[34:35], -v[46:47]
	v_add_f64 v[44:45], v[4:5], v[52:53]
	v_add_f64 v[46:47], v[6:7], v[54:55]
	v_mul_f64 v[4:5], v[104:105], s[22:23]
	v_mul_f64 v[6:7], v[18:19], s[26:27]
	v_add_f64 v[90:91], v[120:121], v[90:91]
	v_add_f64 v[92:93], v[122:123], v[92:93]
	;; [unrolled: 1-line block ×3, first 2 shown]
	v_fma_f64 v[20:21], v[98:99], s[16:17], v[22:23]
	v_fma_f64 v[50:51], v[100:101], s[8:9], v[48:49]
	v_fma_f64 v[22:23], v[98:99], s[16:17], -v[22:23]
	v_fma_f64 v[52:53], v[100:101], s[20:21], v[48:49]
	v_fma_f64 v[54:55], v[98:99], s[26:27], v[4:5]
	;; [unrolled: 1-line block ×3, first 2 shown]
	v_fma_f64 v[4:5], v[98:99], s[26:27], -v[4:5]
	v_fma_f64 v[6:7], v[100:101], s[22:23], v[6:7]
	v_add_f64 v[48:49], v[20:21], v[90:91]
	v_add_f64 v[50:51], v[50:51], v[92:93]
	;; [unrolled: 1-line block ×9, first 2 shown]
	s_barrier
	ds_write_b128 v247, v[0:3]
	ds_write_b128 v247, v[24:27] offset:208
	ds_write_b128 v247, v[40:43] offset:416
	;; [unrolled: 1-line block ×10, first 2 shown]
	s_waitcnt lgkmcnt(0)
	s_barrier
	ds_read_b128 v[0:3], v245
	ds_read_b128 v[24:27], v245 offset:2288
	ds_read_b128 v[48:51], v245 offset:4576
	;; [unrolled: 1-line block ×5, first 2 shown]
	s_and_saveexec_b64 s[8:9], s[2:3]
	s_cbranch_execz .LBB0_19
; %bb.18:
	ds_read_b128 v[4:7], v245 offset:1248
	ds_read_b128 v[20:23], v245 offset:3536
	;; [unrolled: 1-line block ×6, first 2 shown]
.LBB0_19:
	s_or_b64 exec, exec, s[8:9]
	s_waitcnt lgkmcnt(3)
	v_mul_f64 v[88:89], v[82:83], v[50:51]
	s_waitcnt lgkmcnt(1)
	v_mul_f64 v[90:91], v[78:79], v[54:55]
	v_mul_f64 v[92:93], v[70:71], v[40:41]
	s_waitcnt lgkmcnt(0)
	v_mul_f64 v[94:95], v[74:75], v[44:45]
	v_mul_f64 v[82:83], v[82:83], v[48:49]
	;; [unrolled: 1-line block ×5, first 2 shown]
	v_fma_f64 v[48:49], v[80:81], v[48:49], v[88:89]
	v_fma_f64 v[52:53], v[76:77], v[52:53], v[90:91]
	v_mul_f64 v[88:89], v[66:67], v[24:25]
	v_fma_f64 v[42:43], v[68:69], v[42:43], -v[92:93]
	v_fma_f64 v[46:47], v[72:73], v[46:47], -v[94:95]
	;; [unrolled: 1-line block ×4, first 2 shown]
	v_mul_f64 v[66:67], v[66:67], v[26:27]
	v_fma_f64 v[40:41], v[68:69], v[40:41], v[70:71]
	v_add_f64 v[76:77], v[48:49], v[52:53]
	v_fma_f64 v[26:27], v[64:65], v[26:27], -v[88:89]
	v_fma_f64 v[44:45], v[72:73], v[44:45], v[74:75]
	v_add_f64 v[72:73], v[42:43], v[46:47]
	v_add_f64 v[68:69], v[0:1], v[48:49]
	v_add_f64 v[70:71], v[50:51], -v[54:55]
	v_fma_f64 v[24:25], v[64:65], v[24:25], v[66:67]
	s_mov_b32 s8, 0xe8584caa
	v_fma_f64 v[0:1], v[76:77], -0.5, v[0:1]
	s_mov_b32 s9, 0xbfebb67a
	v_add_f64 v[64:65], v[40:41], v[44:45]
	v_add_f64 v[66:67], v[40:41], -v[44:45]
	v_fma_f64 v[72:73], v[72:73], -0.5, v[26:27]
	s_mov_b32 s11, 0x3febb67a
	s_mov_b32 s10, s8
	v_add_f64 v[76:77], v[2:3], v[50:51]
	v_fma_f64 v[74:75], v[70:71], s[8:9], v[0:1]
	v_add_f64 v[50:51], v[50:51], v[54:55]
	v_fma_f64 v[64:65], v[64:65], -0.5, v[24:25]
	v_add_f64 v[78:79], v[42:43], -v[46:47]
	v_fma_f64 v[70:71], v[70:71], s[10:11], v[0:1]
	v_fma_f64 v[0:1], v[66:67], s[10:11], v[72:73]
	v_fma_f64 v[66:67], v[66:67], s[8:9], v[72:73]
	v_add_f64 v[24:25], v[24:25], v[40:41]
	v_add_f64 v[26:27], v[26:27], v[42:43]
	;; [unrolled: 1-line block ×3, first 2 shown]
	v_fma_f64 v[2:3], v[50:51], -0.5, v[2:3]
	v_add_f64 v[48:49], v[48:49], -v[52:53]
	v_fma_f64 v[40:41], v[78:79], s[8:9], v[64:65]
	v_fma_f64 v[50:51], v[78:79], s[10:11], v[64:65]
	v_mul_f64 v[52:53], v[0:1], s[8:9]
	v_mul_f64 v[64:65], v[66:67], s[8:9]
	v_mul_f64 v[0:1], v[0:1], 0.5
	v_mul_f64 v[42:43], v[66:67], -0.5
	v_add_f64 v[54:55], v[76:77], v[54:55]
	v_add_f64 v[44:45], v[24:25], v[44:45]
	;; [unrolled: 1-line block ×3, first 2 shown]
	v_fma_f64 v[66:67], v[48:49], s[10:11], v[2:3]
	v_fma_f64 v[72:73], v[48:49], s[8:9], v[2:3]
	v_fma_f64 v[48:49], v[40:41], 0.5, v[52:53]
	v_fma_f64 v[52:53], v[50:51], -0.5, v[64:65]
	v_fma_f64 v[64:65], v[40:41], s[10:11], v[0:1]
	v_fma_f64 v[76:77], v[50:51], s[10:11], v[42:43]
	v_add_f64 v[0:1], v[68:69], v[44:45]
	v_add_f64 v[2:3], v[54:55], v[46:47]
	v_add_f64 v[44:45], v[68:69], -v[44:45]
	v_add_f64 v[46:47], v[54:55], -v[46:47]
	v_add_f64 v[24:25], v[74:75], v[48:49]
	v_add_f64 v[40:41], v[70:71], v[52:53]
	v_add_f64 v[26:27], v[66:67], v[64:65]
	v_add_f64 v[42:43], v[72:73], v[76:77]
	v_add_f64 v[48:49], v[74:75], -v[48:49]
	v_add_f64 v[50:51], v[66:67], -v[64:65]
	;; [unrolled: 1-line block ×4, first 2 shown]
	ds_write_b128 v246, v[0:3]
	ds_write_b128 v246, v[24:27] offset:2288
	ds_write_b128 v246, v[40:43] offset:4576
	;; [unrolled: 1-line block ×5, first 2 shown]
	s_and_saveexec_b64 s[16:17], s[2:3]
	s_cbranch_execz .LBB0_21
; %bb.20:
	v_mul_f64 v[0:1], v[38:39], v[16:17]
	v_mul_f64 v[2:3], v[30:31], v[8:9]
	;; [unrolled: 1-line block ×7, first 2 shown]
	v_fma_f64 v[0:1], v[36:37], v[18:19], -v[0:1]
	v_fma_f64 v[2:3], v[28:29], v[10:11], -v[2:3]
	v_mul_f64 v[10:11], v[62:63], v[20:21]
	v_fma_f64 v[18:19], v[56:57], v[86:87], -v[24:25]
	v_mul_f64 v[24:25], v[34:35], v[14:15]
	;; [unrolled: 2-line block ×3, first 2 shown]
	v_fma_f64 v[8:9], v[28:29], v[8:9], v[30:31]
	v_fma_f64 v[28:29], v[56:57], v[84:85], v[40:41]
	;; [unrolled: 1-line block ×3, first 2 shown]
	v_fma_f64 v[10:11], v[60:61], v[22:23], -v[10:11]
	v_add_f64 v[22:23], v[2:3], v[18:19]
	v_fma_f64 v[12:13], v[32:33], v[12:13], v[24:25]
	v_add_f64 v[24:25], v[0:1], v[14:15]
	v_fma_f64 v[20:21], v[60:61], v[20:21], v[26:27]
	v_add_f64 v[34:35], v[2:3], -v[18:19]
	v_add_f64 v[26:27], v[8:9], v[28:29]
	v_add_f64 v[30:31], v[8:9], -v[28:29]
	v_add_f64 v[36:37], v[6:7], v[0:1]
	v_fma_f64 v[22:23], v[22:23], -0.5, v[10:11]
	v_add_f64 v[2:3], v[10:11], v[2:3]
	v_add_f64 v[10:11], v[16:17], v[12:13]
	v_add_f64 v[32:33], v[16:17], -v[12:13]
	v_fma_f64 v[6:7], v[24:25], -0.5, v[6:7]
	v_fma_f64 v[26:27], v[26:27], -0.5, v[20:21]
	v_add_f64 v[0:1], v[0:1], -v[14:15]
	v_add_f64 v[16:17], v[4:5], v[16:17]
	v_fma_f64 v[38:39], v[30:31], s[8:9], v[22:23]
	v_fma_f64 v[22:23], v[30:31], s[10:11], v[22:23]
	v_add_f64 v[8:9], v[20:21], v[8:9]
	v_add_f64 v[20:21], v[36:37], v[14:15]
	v_fma_f64 v[14:15], v[34:35], s[10:11], v[26:27]
	v_fma_f64 v[24:25], v[34:35], s[8:9], v[26:27]
	v_add_f64 v[34:35], v[2:3], v[18:19]
	v_mul_f64 v[26:27], v[38:39], -0.5
	v_mul_f64 v[30:31], v[22:23], 0.5
	v_fma_f64 v[2:3], v[10:11], -0.5, v[4:5]
	v_mul_f64 v[10:11], v[22:23], s[8:9]
	v_fma_f64 v[4:5], v[32:33], s[8:9], v[6:7]
	v_fma_f64 v[18:19], v[32:33], s[10:11], v[6:7]
	v_mul_f64 v[6:7], v[38:39], s[8:9]
	v_add_f64 v[8:9], v[8:9], v[28:29]
	v_fma_f64 v[22:23], v[14:15], s[10:11], v[26:27]
	v_fma_f64 v[26:27], v[24:25], s[10:11], v[30:31]
	v_add_f64 v[30:31], v[16:17], v[12:13]
	v_fma_f64 v[28:29], v[0:1], s[10:11], v[2:3]
	v_fma_f64 v[0:1], v[0:1], s[8:9], v[2:3]
	v_fma_f64 v[24:25], v[24:25], 0.5, v[10:11]
	v_fma_f64 v[32:33], v[14:15], -0.5, v[6:7]
	v_add_f64 v[10:11], v[20:21], -v[34:35]
	v_add_f64 v[2:3], v[4:5], -v[22:23]
	v_add_f64 v[14:15], v[4:5], v[22:23]
	v_add_f64 v[22:23], v[20:21], v[34:35]
	;; [unrolled: 1-line block ×3, first 2 shown]
	v_add_f64 v[6:7], v[18:19], -v[26:27]
	v_add_f64 v[18:19], v[18:19], v[26:27]
	v_add_f64 v[16:17], v[0:1], v[24:25]
	;; [unrolled: 1-line block ×3, first 2 shown]
	v_add_f64 v[8:9], v[30:31], -v[8:9]
	v_add_f64 v[4:5], v[0:1], -v[24:25]
	;; [unrolled: 1-line block ×3, first 2 shown]
	ds_write_b128 v246, v[20:23] offset:1248
	ds_write_b128 v246, v[16:19] offset:3536
	;; [unrolled: 1-line block ×6, first 2 shown]
.LBB0_21:
	s_or_b64 exec, exec, s[16:17]
	s_waitcnt lgkmcnt(0)
	s_barrier
	s_and_b64 exec, exec, s[0:1]
	s_cbranch_execz .LBB0_23
; %bb.22:
	global_load_dwordx4 v[2:5], v220, s[14:15]
	global_load_dwordx4 v[6:9], v220, s[14:15] offset:1056
	global_load_dwordx4 v[10:13], v220, s[14:15] offset:2112
	;; [unrolled: 1-line block ×3, first 2 shown]
	v_mov_b32_e32 v1, s15
	v_add_co_u32_e32 v0, vcc, s14, v220
	v_addc_co_u32_e32 v1, vcc, 0, v1, vcc
	s_movk_i32 s0, 0x1000
	v_add_co_u32_e32 v66, vcc, s0, v0
	v_addc_co_u32_e32 v67, vcc, 0, v1, vcc
	global_load_dwordx4 v[18:21], v[66:67], off offset:128
	global_load_dwordx4 v[22:25], v[66:67], off offset:1184
	ds_read_b128 v[26:29], v246
	ds_read_b128 v[30:33], v246 offset:1056
	ds_read_b128 v[34:37], v246 offset:2112
	;; [unrolled: 1-line block ×5, first 2 shown]
	global_load_dwordx4 v[50:53], v[66:67], off offset:2240
	v_mad_u64_u32 v[76:77], s[2:3], s4, v219, 0
	v_mad_u64_u32 v[74:75], s[0:1], s6, v148, 0
	s_mul_hi_u32 s6, s4, 0x420
	s_mul_i32 s2, s4, 0x420
	s_movk_i32 s4, 0x2000
	v_add_co_u32_e32 v78, vcc, s4, v0
	v_addc_co_u32_e32 v79, vcc, 0, v1, vcc
	global_load_dwordx4 v[54:57], v[66:67], off offset:3296
	global_load_dwordx4 v[58:61], v[78:79], off offset:256
	;; [unrolled: 1-line block ×3, first 2 shown]
	s_mul_i32 s3, s5, 0x420
	v_mov_b32_e32 v66, v75
	v_mov_b32_e32 v67, v77
	s_add_i32 s3, s6, s3
	v_mad_u64_u32 v[80:81], s[6:7], s7, v148, v[66:67]
	v_mad_u64_u32 v[81:82], s[4:5], s5, v219, v[67:68]
	v_mov_b32_e32 v75, v80
	v_lshlrev_b64 v[74:75], 4, v[74:75]
	global_load_dwordx4 v[66:69], v[78:79], off offset:2368
	global_load_dwordx4 v[70:73], v[78:79], off offset:3424
	v_mov_b32_e32 v77, v81
	v_mov_b32_e32 v83, s13
	v_lshlrev_b64 v[76:77], 4, v[76:77]
	v_add_co_u32_e32 v74, vcc, s12, v74
	v_addc_co_u32_e32 v75, vcc, v83, v75, vcc
	v_add_co_u32_e32 v74, vcc, v74, v76
	v_addc_co_u32_e32 v75, vcc, v75, v77, vcc
	v_mov_b32_e32 v84, s3
	v_add_co_u32_e32 v76, vcc, s2, v74
	v_addc_co_u32_e32 v77, vcc, v75, v84, vcc
	v_mov_b32_e32 v85, s3
	v_add_co_u32_e32 v78, vcc, s2, v76
	v_addc_co_u32_e32 v79, vcc, v77, v85, vcc
	s_mov_b32 s0, 0x58e9ebb6
	s_mov_b32 s1, 0x3f531877
	v_mov_b32_e32 v90, s3
	s_movk_i32 s4, 0x3000
	s_waitcnt vmcnt(11) lgkmcnt(5)
	v_mul_f64 v[80:81], v[28:29], v[4:5]
	v_mul_f64 v[4:5], v[26:27], v[4:5]
	s_waitcnt vmcnt(10) lgkmcnt(4)
	v_mul_f64 v[82:83], v[32:33], v[8:9]
	v_mul_f64 v[8:9], v[30:31], v[8:9]
	;; [unrolled: 3-line block ×4, first 2 shown]
	v_fma_f64 v[26:27], v[26:27], v[2:3], v[80:81]
	v_fma_f64 v[4:5], v[2:3], v[28:29], -v[4:5]
	v_fma_f64 v[28:29], v[30:31], v[6:7], v[82:83]
	v_fma_f64 v[8:9], v[6:7], v[32:33], -v[8:9]
	;; [unrolled: 2-line block ×3, first 2 shown]
	s_waitcnt vmcnt(7) lgkmcnt(1)
	v_mul_f64 v[88:89], v[44:45], v[20:21]
	v_mul_f64 v[20:21], v[42:43], v[20:21]
	v_fma_f64 v[32:33], v[38:39], v[14:15], v[86:87]
	v_fma_f64 v[16:17], v[14:15], v[40:41], -v[16:17]
	v_mul_f64 v[2:3], v[26:27], s[0:1]
	v_mul_f64 v[4:5], v[4:5], s[0:1]
	;; [unrolled: 1-line block ×6, first 2 shown]
	s_waitcnt vmcnt(6) lgkmcnt(0)
	v_mul_f64 v[26:27], v[48:49], v[24:25]
	v_fma_f64 v[28:29], v[42:43], v[18:19], v[88:89]
	v_fma_f64 v[18:19], v[18:19], v[44:45], -v[20:21]
	v_mul_f64 v[14:15], v[32:33], s[0:1]
	v_mul_f64 v[16:17], v[16:17], s[0:1]
	global_store_dwordx4 v[74:75], v[2:5], off
	global_store_dwordx4 v[76:77], v[6:9], off
	global_store_dwordx4 v[78:79], v[10:13], off
	ds_read_b128 v[6:9], v246 offset:6336
	v_mul_f64 v[10:11], v[46:47], v[24:25]
	v_add_co_u32_e32 v20, vcc, s2, v78
	v_addc_co_u32_e32 v21, vcc, v79, v90, vcc
	global_store_dwordx4 v[20:21], v[14:17], off
	v_mul_f64 v[2:3], v[28:29], s[0:1]
	v_mul_f64 v[4:5], v[18:19], s[0:1]
	v_fma_f64 v[14:15], v[46:47], v[22:23], v[26:27]
	v_fma_f64 v[16:17], v[22:23], v[48:49], -v[10:11]
	ds_read_b128 v[10:13], v246 offset:7392
	s_waitcnt vmcnt(9) lgkmcnt(1)
	v_mul_f64 v[18:19], v[8:9], v[52:53]
	v_mul_f64 v[22:23], v[6:7], v[52:53]
	v_mov_b32_e32 v24, s3
	v_add_co_u32_e32 v20, vcc, s2, v20
	v_addc_co_u32_e32 v21, vcc, v21, v24, vcc
	global_store_dwordx4 v[20:21], v[2:5], off
	v_fma_f64 v[6:7], v[6:7], v[50:51], v[18:19]
	v_mul_f64 v[2:3], v[14:15], s[0:1]
	v_mul_f64 v[4:5], v[16:17], s[0:1]
	v_fma_f64 v[8:9], v[50:51], v[8:9], -v[22:23]
	s_waitcnt vmcnt(9) lgkmcnt(0)
	v_mul_f64 v[14:15], v[12:13], v[56:57]
	v_mul_f64 v[16:17], v[10:11], v[56:57]
	v_add_co_u32_e32 v18, vcc, s2, v20
	v_addc_co_u32_e32 v19, vcc, v21, v24, vcc
	global_store_dwordx4 v[18:19], v[2:5], off
	v_add_co_u32_e32 v18, vcc, s2, v18
	v_mul_f64 v[2:3], v[6:7], s[0:1]
	v_mul_f64 v[4:5], v[8:9], s[0:1]
	ds_read_b128 v[6:9], v246 offset:8448
	v_fma_f64 v[14:15], v[10:11], v[54:55], v[14:15]
	v_fma_f64 v[16:17], v[54:55], v[12:13], -v[16:17]
	ds_read_b128 v[10:13], v246 offset:9504
	v_addc_co_u32_e32 v19, vcc, v19, v24, vcc
	s_waitcnt vmcnt(9) lgkmcnt(1)
	v_mul_f64 v[20:21], v[8:9], v[60:61]
	v_mul_f64 v[22:23], v[6:7], v[60:61]
	global_store_dwordx4 v[18:19], v[2:5], off
	v_add_co_u32_e32 v18, vcc, s2, v18
	v_mul_f64 v[2:3], v[14:15], s[0:1]
	v_mul_f64 v[4:5], v[16:17], s[0:1]
	s_waitcnt vmcnt(9) lgkmcnt(0)
	v_mul_f64 v[14:15], v[12:13], v[64:65]
	v_fma_f64 v[6:7], v[6:7], v[58:59], v[20:21]
	v_fma_f64 v[8:9], v[58:59], v[8:9], -v[22:23]
	v_mul_f64 v[16:17], v[10:11], v[64:65]
	v_addc_co_u32_e32 v19, vcc, v19, v24, vcc
	v_mov_b32_e32 v20, s3
	global_store_dwordx4 v[18:19], v[2:5], off
	v_fma_f64 v[14:15], v[10:11], v[62:63], v[14:15]
	v_mul_f64 v[2:3], v[6:7], s[0:1]
	v_mul_f64 v[4:5], v[8:9], s[0:1]
	v_fma_f64 v[16:17], v[62:63], v[12:13], -v[16:17]
	ds_read_b128 v[6:9], v246 offset:10560
	ds_read_b128 v[10:13], v246 offset:11616
	v_add_co_u32_e32 v18, vcc, s2, v18
	v_addc_co_u32_e32 v19, vcc, v19, v20, vcc
	s_waitcnt vmcnt(9) lgkmcnt(1)
	v_mul_f64 v[20:21], v[8:9], v[68:69]
	v_mul_f64 v[22:23], v[6:7], v[68:69]
	s_waitcnt vmcnt(8) lgkmcnt(0)
	v_mul_f64 v[24:25], v[12:13], v[72:73]
	v_mul_f64 v[26:27], v[10:11], v[72:73]
	global_store_dwordx4 v[18:19], v[2:5], off
	v_fma_f64 v[6:7], v[6:7], v[66:67], v[20:21]
	v_mul_f64 v[2:3], v[14:15], s[0:1]
	v_mul_f64 v[4:5], v[16:17], s[0:1]
	v_fma_f64 v[8:9], v[66:67], v[8:9], -v[22:23]
	v_fma_f64 v[10:11], v[10:11], v[70:71], v[24:25]
	v_fma_f64 v[12:13], v[70:71], v[12:13], -v[26:27]
	v_mov_b32_e32 v15, s3
	v_add_co_u32_e32 v14, vcc, s2, v18
	v_addc_co_u32_e32 v15, vcc, v19, v15, vcc
	global_store_dwordx4 v[14:15], v[2:5], off
	v_mov_b32_e32 v16, s3
	v_mul_f64 v[2:3], v[6:7], s[0:1]
	v_mul_f64 v[4:5], v[8:9], s[0:1]
	;; [unrolled: 1-line block ×4, first 2 shown]
	v_add_co_u32_e32 v10, vcc, s2, v14
	v_addc_co_u32_e32 v11, vcc, v15, v16, vcc
	global_store_dwordx4 v[10:11], v[2:5], off
	s_nop 0
	v_mov_b32_e32 v2, s3
	v_add_co_u32_e32 v10, vcc, s2, v10
	v_addc_co_u32_e32 v11, vcc, v11, v2, vcc
	v_add_co_u32_e32 v0, vcc, s4, v0
	global_store_dwordx4 v[10:11], v[6:9], off
	v_addc_co_u32_e32 v1, vcc, 0, v1, vcc
	global_load_dwordx4 v[0:3], v[0:1], off offset:384
	ds_read_b128 v[4:7], v246 offset:12672
	s_waitcnt vmcnt(0) lgkmcnt(0)
	v_mul_f64 v[8:9], v[6:7], v[2:3]
	v_mul_f64 v[2:3], v[4:5], v[2:3]
	v_fma_f64 v[4:5], v[4:5], v[0:1], v[8:9]
	v_fma_f64 v[2:3], v[0:1], v[6:7], -v[2:3]
	v_mul_f64 v[0:1], v[4:5], s[0:1]
	v_mul_f64 v[2:3], v[2:3], s[0:1]
	v_mov_b32_e32 v5, s3
	v_add_co_u32_e32 v4, vcc, s2, v10
	v_addc_co_u32_e32 v5, vcc, v11, v5, vcc
	global_store_dwordx4 v[4:5], v[0:3], off
.LBB0_23:
	s_endpgm
	.section	.rodata,"a",@progbits
	.p2align	6, 0x0
	.amdhsa_kernel bluestein_single_back_len858_dim1_dp_op_CI_CI
		.amdhsa_group_segment_fixed_size 41184
		.amdhsa_private_segment_fixed_size 172
		.amdhsa_kernarg_size 104
		.amdhsa_user_sgpr_count 6
		.amdhsa_user_sgpr_private_segment_buffer 1
		.amdhsa_user_sgpr_dispatch_ptr 0
		.amdhsa_user_sgpr_queue_ptr 0
		.amdhsa_user_sgpr_kernarg_segment_ptr 1
		.amdhsa_user_sgpr_dispatch_id 0
		.amdhsa_user_sgpr_flat_scratch_init 0
		.amdhsa_user_sgpr_private_segment_size 0
		.amdhsa_uses_dynamic_stack 0
		.amdhsa_system_sgpr_private_segment_wavefront_offset 1
		.amdhsa_system_sgpr_workgroup_id_x 1
		.amdhsa_system_sgpr_workgroup_id_y 0
		.amdhsa_system_sgpr_workgroup_id_z 0
		.amdhsa_system_sgpr_workgroup_info 0
		.amdhsa_system_vgpr_workitem_id 0
		.amdhsa_next_free_vgpr 256
		.amdhsa_next_free_sgpr 56
		.amdhsa_reserve_vcc 1
		.amdhsa_reserve_flat_scratch 0
		.amdhsa_float_round_mode_32 0
		.amdhsa_float_round_mode_16_64 0
		.amdhsa_float_denorm_mode_32 3
		.amdhsa_float_denorm_mode_16_64 3
		.amdhsa_dx10_clamp 1
		.amdhsa_ieee_mode 1
		.amdhsa_fp16_overflow 0
		.amdhsa_exception_fp_ieee_invalid_op 0
		.amdhsa_exception_fp_denorm_src 0
		.amdhsa_exception_fp_ieee_div_zero 0
		.amdhsa_exception_fp_ieee_overflow 0
		.amdhsa_exception_fp_ieee_underflow 0
		.amdhsa_exception_fp_ieee_inexact 0
		.amdhsa_exception_int_div_zero 0
	.end_amdhsa_kernel
	.text
.Lfunc_end0:
	.size	bluestein_single_back_len858_dim1_dp_op_CI_CI, .Lfunc_end0-bluestein_single_back_len858_dim1_dp_op_CI_CI
                                        ; -- End function
	.section	.AMDGPU.csdata,"",@progbits
; Kernel info:
; codeLenInByte = 21328
; NumSgprs: 60
; NumVgprs: 256
; ScratchSize: 172
; MemoryBound: 0
; FloatMode: 240
; IeeeMode: 1
; LDSByteSize: 41184 bytes/workgroup (compile time only)
; SGPRBlocks: 7
; VGPRBlocks: 63
; NumSGPRsForWavesPerEU: 60
; NumVGPRsForWavesPerEU: 256
; Occupancy: 1
; WaveLimiterHint : 1
; COMPUTE_PGM_RSRC2:SCRATCH_EN: 1
; COMPUTE_PGM_RSRC2:USER_SGPR: 6
; COMPUTE_PGM_RSRC2:TRAP_HANDLER: 0
; COMPUTE_PGM_RSRC2:TGID_X_EN: 1
; COMPUTE_PGM_RSRC2:TGID_Y_EN: 0
; COMPUTE_PGM_RSRC2:TGID_Z_EN: 0
; COMPUTE_PGM_RSRC2:TIDIG_COMP_CNT: 0
	.type	__hip_cuid_114d8d528414583b,@object ; @__hip_cuid_114d8d528414583b
	.section	.bss,"aw",@nobits
	.globl	__hip_cuid_114d8d528414583b
__hip_cuid_114d8d528414583b:
	.byte	0                               ; 0x0
	.size	__hip_cuid_114d8d528414583b, 1

	.ident	"AMD clang version 19.0.0git (https://github.com/RadeonOpenCompute/llvm-project roc-6.4.0 25133 c7fe45cf4b819c5991fe208aaa96edf142730f1d)"
	.section	".note.GNU-stack","",@progbits
	.addrsig
	.addrsig_sym __hip_cuid_114d8d528414583b
	.amdgpu_metadata
---
amdhsa.kernels:
  - .args:
      - .actual_access:  read_only
        .address_space:  global
        .offset:         0
        .size:           8
        .value_kind:     global_buffer
      - .actual_access:  read_only
        .address_space:  global
        .offset:         8
        .size:           8
        .value_kind:     global_buffer
      - .actual_access:  read_only
        .address_space:  global
        .offset:         16
        .size:           8
        .value_kind:     global_buffer
      - .actual_access:  read_only
        .address_space:  global
        .offset:         24
        .size:           8
        .value_kind:     global_buffer
      - .actual_access:  read_only
        .address_space:  global
        .offset:         32
        .size:           8
        .value_kind:     global_buffer
      - .offset:         40
        .size:           8
        .value_kind:     by_value
      - .address_space:  global
        .offset:         48
        .size:           8
        .value_kind:     global_buffer
      - .address_space:  global
        .offset:         56
        .size:           8
        .value_kind:     global_buffer
      - .address_space:  global
        .offset:         64
        .size:           8
        .value_kind:     global_buffer
      - .address_space:  global
        .offset:         72
        .size:           8
        .value_kind:     global_buffer
      - .offset:         80
        .size:           4
        .value_kind:     by_value
      - .address_space:  global
        .offset:         88
        .size:           8
        .value_kind:     global_buffer
      - .address_space:  global
        .offset:         96
        .size:           8
        .value_kind:     global_buffer
    .group_segment_fixed_size: 41184
    .kernarg_segment_align: 8
    .kernarg_segment_size: 104
    .language:       OpenCL C
    .language_version:
      - 2
      - 0
    .max_flat_workgroup_size: 234
    .name:           bluestein_single_back_len858_dim1_dp_op_CI_CI
    .private_segment_fixed_size: 172
    .sgpr_count:     60
    .sgpr_spill_count: 0
    .symbol:         bluestein_single_back_len858_dim1_dp_op_CI_CI.kd
    .uniform_work_group_size: 1
    .uses_dynamic_stack: false
    .vgpr_count:     256
    .vgpr_spill_count: 42
    .wavefront_size: 64
amdhsa.target:   amdgcn-amd-amdhsa--gfx906
amdhsa.version:
  - 1
  - 2
...

	.end_amdgpu_metadata
